;; amdgpu-corpus repo=ROCm/rocFFT kind=compiled arch=gfx1030 opt=O3
	.text
	.amdgcn_target "amdgcn-amd-amdhsa--gfx1030"
	.amdhsa_code_object_version 6
	.protected	fft_rtc_back_len1836_factors_17_3_3_2_6_wgs_153_tpt_153_halfLds_dp_ip_CI_sbrr_dirReg ; -- Begin function fft_rtc_back_len1836_factors_17_3_3_2_6_wgs_153_tpt_153_halfLds_dp_ip_CI_sbrr_dirReg
	.globl	fft_rtc_back_len1836_factors_17_3_3_2_6_wgs_153_tpt_153_halfLds_dp_ip_CI_sbrr_dirReg
	.p2align	8
	.type	fft_rtc_back_len1836_factors_17_3_3_2_6_wgs_153_tpt_153_halfLds_dp_ip_CI_sbrr_dirReg,@function
fft_rtc_back_len1836_factors_17_3_3_2_6_wgs_153_tpt_153_halfLds_dp_ip_CI_sbrr_dirReg: ; @fft_rtc_back_len1836_factors_17_3_3_2_6_wgs_153_tpt_153_halfLds_dp_ip_CI_sbrr_dirReg
; %bb.0:
	s_clause 0x2
	s_load_dwordx2 s[14:15], s[4:5], 0x18
	s_load_dwordx4 s[8:11], s[4:5], 0x0
	s_load_dwordx2 s[12:13], s[4:5], 0x50
	v_mul_u32_u24_e32 v1, 0x1ad, v0
	v_mov_b32_e32 v3, 0
	v_add_nc_u32_sdwa v5, s6, v1 dst_sel:DWORD dst_unused:UNUSED_PAD src0_sel:DWORD src1_sel:WORD_1
	v_mov_b32_e32 v1, 0
	v_mov_b32_e32 v6, v3
	v_mov_b32_e32 v2, 0
	s_waitcnt lgkmcnt(0)
	s_load_dwordx2 s[2:3], s[14:15], 0x0
	v_cmp_lt_u64_e64 s0, s[10:11], 2
	s_and_b32 vcc_lo, exec_lo, s0
	s_cbranch_vccnz .LBB0_8
; %bb.1:
	s_load_dwordx2 s[0:1], s[4:5], 0x10
	v_mov_b32_e32 v1, 0
	s_add_u32 s6, s14, 8
	v_mov_b32_e32 v2, 0
	s_addc_u32 s7, s15, 0
	s_mov_b64 s[18:19], 1
	s_waitcnt lgkmcnt(0)
	s_add_u32 s16, s0, 8
	s_addc_u32 s17, s1, 0
.LBB0_2:                                ; =>This Inner Loop Header: Depth=1
	s_load_dwordx2 s[20:21], s[16:17], 0x0
                                        ; implicit-def: $vgpr7_vgpr8
	s_mov_b32 s0, exec_lo
	s_waitcnt lgkmcnt(0)
	v_or_b32_e32 v4, s21, v6
	v_cmpx_ne_u64_e32 0, v[3:4]
	s_xor_b32 s1, exec_lo, s0
	s_cbranch_execz .LBB0_4
; %bb.3:                                ;   in Loop: Header=BB0_2 Depth=1
	v_cvt_f32_u32_e32 v4, s20
	v_cvt_f32_u32_e32 v7, s21
	s_sub_u32 s0, 0, s20
	s_subb_u32 s22, 0, s21
	v_fmac_f32_e32 v4, 0x4f800000, v7
	v_rcp_f32_e32 v4, v4
	v_mul_f32_e32 v4, 0x5f7ffffc, v4
	v_mul_f32_e32 v7, 0x2f800000, v4
	v_trunc_f32_e32 v7, v7
	v_fmac_f32_e32 v4, 0xcf800000, v7
	v_cvt_u32_f32_e32 v7, v7
	v_cvt_u32_f32_e32 v4, v4
	v_mul_lo_u32 v8, s0, v7
	v_mul_hi_u32 v9, s0, v4
	v_mul_lo_u32 v10, s22, v4
	v_add_nc_u32_e32 v8, v9, v8
	v_mul_lo_u32 v9, s0, v4
	v_add_nc_u32_e32 v8, v8, v10
	v_mul_hi_u32 v10, v4, v9
	v_mul_lo_u32 v11, v4, v8
	v_mul_hi_u32 v12, v4, v8
	v_mul_hi_u32 v13, v7, v9
	v_mul_lo_u32 v9, v7, v9
	v_mul_hi_u32 v14, v7, v8
	v_mul_lo_u32 v8, v7, v8
	v_add_co_u32 v10, vcc_lo, v10, v11
	v_add_co_ci_u32_e32 v11, vcc_lo, 0, v12, vcc_lo
	v_add_co_u32 v9, vcc_lo, v10, v9
	v_add_co_ci_u32_e32 v9, vcc_lo, v11, v13, vcc_lo
	v_add_co_ci_u32_e32 v10, vcc_lo, 0, v14, vcc_lo
	v_add_co_u32 v8, vcc_lo, v9, v8
	v_add_co_ci_u32_e32 v9, vcc_lo, 0, v10, vcc_lo
	v_add_co_u32 v4, vcc_lo, v4, v8
	v_add_co_ci_u32_e32 v7, vcc_lo, v7, v9, vcc_lo
	v_mul_hi_u32 v8, s0, v4
	v_mul_lo_u32 v10, s22, v4
	v_mul_lo_u32 v9, s0, v7
	v_add_nc_u32_e32 v8, v8, v9
	v_mul_lo_u32 v9, s0, v4
	v_add_nc_u32_e32 v8, v8, v10
	v_mul_hi_u32 v10, v4, v9
	v_mul_lo_u32 v11, v4, v8
	v_mul_hi_u32 v12, v4, v8
	v_mul_hi_u32 v13, v7, v9
	v_mul_lo_u32 v9, v7, v9
	v_mul_hi_u32 v14, v7, v8
	v_mul_lo_u32 v8, v7, v8
	v_add_co_u32 v10, vcc_lo, v10, v11
	v_add_co_ci_u32_e32 v11, vcc_lo, 0, v12, vcc_lo
	v_add_co_u32 v9, vcc_lo, v10, v9
	v_add_co_ci_u32_e32 v9, vcc_lo, v11, v13, vcc_lo
	v_add_co_ci_u32_e32 v10, vcc_lo, 0, v14, vcc_lo
	v_add_co_u32 v8, vcc_lo, v9, v8
	v_add_co_ci_u32_e32 v9, vcc_lo, 0, v10, vcc_lo
	v_add_co_u32 v4, vcc_lo, v4, v8
	v_add_co_ci_u32_e32 v11, vcc_lo, v7, v9, vcc_lo
	v_mul_hi_u32 v13, v5, v4
	v_mad_u64_u32 v[9:10], null, v6, v4, 0
	v_mad_u64_u32 v[7:8], null, v5, v11, 0
	;; [unrolled: 1-line block ×3, first 2 shown]
	v_add_co_u32 v4, vcc_lo, v13, v7
	v_add_co_ci_u32_e32 v7, vcc_lo, 0, v8, vcc_lo
	v_add_co_u32 v4, vcc_lo, v4, v9
	v_add_co_ci_u32_e32 v4, vcc_lo, v7, v10, vcc_lo
	v_add_co_ci_u32_e32 v7, vcc_lo, 0, v12, vcc_lo
	v_add_co_u32 v4, vcc_lo, v4, v11
	v_add_co_ci_u32_e32 v9, vcc_lo, 0, v7, vcc_lo
	v_mul_lo_u32 v10, s21, v4
	v_mad_u64_u32 v[7:8], null, s20, v4, 0
	v_mul_lo_u32 v11, s20, v9
	v_sub_co_u32 v7, vcc_lo, v5, v7
	v_add3_u32 v8, v8, v11, v10
	v_sub_nc_u32_e32 v10, v6, v8
	v_subrev_co_ci_u32_e64 v10, s0, s21, v10, vcc_lo
	v_add_co_u32 v11, s0, v4, 2
	v_add_co_ci_u32_e64 v12, s0, 0, v9, s0
	v_sub_co_u32 v13, s0, v7, s20
	v_sub_co_ci_u32_e32 v8, vcc_lo, v6, v8, vcc_lo
	v_subrev_co_ci_u32_e64 v10, s0, 0, v10, s0
	v_cmp_le_u32_e32 vcc_lo, s20, v13
	v_cmp_eq_u32_e64 s0, s21, v8
	v_cndmask_b32_e64 v13, 0, -1, vcc_lo
	v_cmp_le_u32_e32 vcc_lo, s21, v10
	v_cndmask_b32_e64 v14, 0, -1, vcc_lo
	v_cmp_le_u32_e32 vcc_lo, s20, v7
	;; [unrolled: 2-line block ×3, first 2 shown]
	v_cndmask_b32_e64 v15, 0, -1, vcc_lo
	v_cmp_eq_u32_e32 vcc_lo, s21, v10
	v_cndmask_b32_e64 v7, v15, v7, s0
	v_cndmask_b32_e32 v10, v14, v13, vcc_lo
	v_add_co_u32 v13, vcc_lo, v4, 1
	v_add_co_ci_u32_e32 v14, vcc_lo, 0, v9, vcc_lo
	v_cmp_ne_u32_e32 vcc_lo, 0, v10
	v_cndmask_b32_e32 v8, v14, v12, vcc_lo
	v_cndmask_b32_e32 v10, v13, v11, vcc_lo
	v_cmp_ne_u32_e32 vcc_lo, 0, v7
	v_cndmask_b32_e32 v8, v9, v8, vcc_lo
	v_cndmask_b32_e32 v7, v4, v10, vcc_lo
.LBB0_4:                                ;   in Loop: Header=BB0_2 Depth=1
	s_andn2_saveexec_b32 s0, s1
	s_cbranch_execz .LBB0_6
; %bb.5:                                ;   in Loop: Header=BB0_2 Depth=1
	v_cvt_f32_u32_e32 v4, s20
	s_sub_i32 s1, 0, s20
	v_rcp_iflag_f32_e32 v4, v4
	v_mul_f32_e32 v4, 0x4f7ffffe, v4
	v_cvt_u32_f32_e32 v4, v4
	v_mul_lo_u32 v7, s1, v4
	v_mul_hi_u32 v7, v4, v7
	v_add_nc_u32_e32 v4, v4, v7
	v_mul_hi_u32 v4, v5, v4
	v_mul_lo_u32 v7, v4, s20
	v_add_nc_u32_e32 v8, 1, v4
	v_sub_nc_u32_e32 v7, v5, v7
	v_subrev_nc_u32_e32 v9, s20, v7
	v_cmp_le_u32_e32 vcc_lo, s20, v7
	v_cndmask_b32_e32 v7, v7, v9, vcc_lo
	v_cndmask_b32_e32 v4, v4, v8, vcc_lo
	v_cmp_le_u32_e32 vcc_lo, s20, v7
	v_add_nc_u32_e32 v8, 1, v4
	v_cndmask_b32_e32 v7, v4, v8, vcc_lo
	v_mov_b32_e32 v8, v3
.LBB0_6:                                ;   in Loop: Header=BB0_2 Depth=1
	s_or_b32 exec_lo, exec_lo, s0
	s_load_dwordx2 s[0:1], s[6:7], 0x0
	v_mul_lo_u32 v4, v8, s20
	v_mul_lo_u32 v11, v7, s21
	v_mad_u64_u32 v[9:10], null, v7, s20, 0
	s_add_u32 s18, s18, 1
	s_addc_u32 s19, s19, 0
	s_add_u32 s6, s6, 8
	s_addc_u32 s7, s7, 0
	;; [unrolled: 2-line block ×3, first 2 shown]
	v_add3_u32 v4, v10, v11, v4
	v_sub_co_u32 v5, vcc_lo, v5, v9
	v_sub_co_ci_u32_e32 v4, vcc_lo, v6, v4, vcc_lo
	s_waitcnt lgkmcnt(0)
	v_mul_lo_u32 v6, s1, v5
	v_mul_lo_u32 v4, s0, v4
	v_mad_u64_u32 v[1:2], null, s0, v5, v[1:2]
	v_cmp_ge_u64_e64 s0, s[18:19], s[10:11]
	s_and_b32 vcc_lo, exec_lo, s0
	v_add3_u32 v2, v6, v2, v4
	s_cbranch_vccnz .LBB0_9
; %bb.7:                                ;   in Loop: Header=BB0_2 Depth=1
	v_mov_b32_e32 v5, v7
	v_mov_b32_e32 v6, v8
	s_branch .LBB0_2
.LBB0_8:
	v_mov_b32_e32 v8, v6
	v_mov_b32_e32 v7, v5
.LBB0_9:
	s_lshl_b64 s[0:1], s[10:11], 3
	v_mul_hi_u32 v3, 0x1ac5702, v0
	s_add_u32 s0, s14, s0
	s_addc_u32 s1, s15, s1
                                        ; implicit-def: $vgpr22_vgpr23
                                        ; implicit-def: $vgpr30_vgpr31
                                        ; implicit-def: $vgpr34_vgpr35
                                        ; implicit-def: $vgpr38_vgpr39
                                        ; implicit-def: $vgpr42_vgpr43
                                        ; implicit-def: $vgpr46_vgpr47
                                        ; implicit-def: $vgpr10_vgpr11
                                        ; implicit-def: $vgpr14_vgpr15
                                        ; implicit-def: $vgpr50_vgpr51
                                        ; implicit-def: $vgpr54_vgpr55
                                        ; implicit-def: $vgpr18_vgpr19
                                        ; implicit-def: $vgpr26_vgpr27
                                        ; implicit-def: $vgpr58_vgpr59
                                        ; implicit-def: $vgpr62_vgpr63
                                        ; implicit-def: $vgpr66_vgpr67
	s_load_dwordx2 s[0:1], s[0:1], 0x0
	s_load_dwordx2 s[4:5], s[4:5], 0x20
	v_mul_u32_u24_e32 v3, 0x99, v3
	v_sub_nc_u32_e32 v92, v0, v3
	s_waitcnt lgkmcnt(0)
	v_mul_lo_u32 v4, s0, v8
	v_mul_lo_u32 v5, s1, v7
	v_mad_u64_u32 v[1:2], null, s0, v7, v[1:2]
	v_cmp_gt_u64_e32 vcc_lo, s[4:5], v[7:8]
	v_cmp_gt_u32_e64 s0, 0x6c, v92
                                        ; implicit-def: $vgpr6_vgpr7
	s_and_b32 s1, vcc_lo, s0
	v_add3_u32 v2, v5, v2, v4
	v_lshlrev_b64 v[94:95], 4, v[1:2]
                                        ; implicit-def: $vgpr2_vgpr3
	s_and_saveexec_b32 s4, s1
	s_cbranch_execz .LBB0_11
; %bb.10:
	v_add_nc_u32_e32 v9, 0x6c, v92
	v_mad_u64_u32 v[0:1], null, s2, v92, 0
	v_add_nc_u32_e32 v11, 0xd8, v92
	v_add_nc_u32_e32 v12, 0x144, v92
	v_mad_u64_u32 v[2:3], null, s2, v9, 0
	v_add_co_u32 v42, s1, s12, v94
	v_mad_u64_u32 v[7:8], null, s2, v12, 0
	v_add_co_ci_u32_e64 v43, s1, s13, v95, s1
	v_mad_u64_u32 v[4:5], null, s3, v92, v[1:2]
	v_mov_b32_e32 v1, v3
	v_mad_u64_u32 v[5:6], null, s2, v11, 0
	v_add_nc_u32_e32 v15, 0x1b0, v92
	v_add_nc_u32_e32 v16, 0x21c, v92
	v_mad_u64_u32 v[9:10], null, s3, v9, v[1:2]
	v_mov_b32_e32 v1, v4
	v_add_nc_u32_e32 v17, 0x288, v92
	v_mov_b32_e32 v4, v6
	v_mov_b32_e32 v6, v8
	v_mad_u64_u32 v[13:14], null, s2, v16, 0
	v_mov_b32_e32 v3, v9
	v_lshlrev_b64 v[0:1], 4, v[0:1]
	v_mad_u64_u32 v[8:9], null, s3, v11, v[4:5]
	v_mad_u64_u32 v[20:21], null, s2, v17, 0
	v_lshlrev_b64 v[2:3], 4, v[2:3]
	v_add_co_u32 v0, s1, v42, v0
	v_add_co_ci_u32_e64 v1, s1, v43, v1, s1
	v_add_nc_u32_e32 v28, 0x360, v92
	v_add_co_u32 v9, s1, v42, v2
	v_add_co_ci_u32_e64 v10, s1, v43, v3, s1
	v_mad_u64_u32 v[2:3], null, s3, v12, v[6:7]
	v_mad_u64_u32 v[11:12], null, s2, v15, 0
	v_mov_b32_e32 v6, v8
	v_mad_u64_u32 v[22:23], null, s2, v28, 0
	v_add_nc_u32_e32 v29, 0x3cc, v92
	v_mov_b32_e32 v8, v2
	v_lshlrev_b64 v[4:5], 4, v[5:6]
	v_mov_b32_e32 v6, v12
	s_clause 0x1
	global_load_dwordx4 v[0:3], v[0:1], off
	global_load_dwordx4 v[64:67], v[9:10], off
	v_mov_b32_e32 v9, v14
	v_lshlrev_b64 v[7:8], 4, v[7:8]
	v_add_nc_u32_e32 v31, 0x510, v92
	v_add_co_u32 v4, s1, v42, v4
	v_mad_u64_u32 v[9:10], null, s3, v16, v[9:10]
	v_mad_u64_u32 v[14:15], null, s3, v15, v[6:7]
	v_add_co_ci_u32_e64 v5, s1, v43, v5, s1
	v_add_co_u32 v6, s1, v42, v7
	v_add_co_ci_u32_e64 v7, s1, v43, v8, s1
	v_mov_b32_e32 v12, v14
	v_mov_b32_e32 v14, v9
	;; [unrolled: 1-line block ×3, first 2 shown]
	v_add_nc_u32_e32 v16, 0x2f4, v92
	v_add_nc_u32_e32 v34, 0x57c, v92
	v_lshlrev_b64 v[9:10], 4, v[11:12]
	v_lshlrev_b64 v[11:12], 4, v[13:14]
	v_mad_u64_u32 v[13:14], null, s3, v17, v[8:9]
	v_mad_u64_u32 v[14:15], null, s2, v16, 0
	v_add_co_u32 v8, s1, v42, v9
	v_add_co_ci_u32_e64 v9, s1, v43, v10, s1
	v_add_co_u32 v10, s1, v42, v11
	v_add_co_ci_u32_e64 v11, s1, v43, v12, s1
	v_mov_b32_e32 v12, v15
	v_mov_b32_e32 v21, v13
	v_mad_u64_u32 v[12:13], null, s3, v16, v[12:13]
	s_clause 0x3
	global_load_dwordx4 v[60:63], v[4:5], off
	global_load_dwordx4 v[56:59], v[6:7], off
	;; [unrolled: 1-line block ×4, first 2 shown]
	v_mad_u64_u32 v[7:8], null, s2, v29, 0
	v_mov_b32_e32 v6, v23
	v_lshlrev_b64 v[4:5], 4, v[20:21]
	v_mov_b32_e32 v15, v12
	v_mad_u64_u32 v[9:10], null, s3, v28, v[6:7]
	v_add_nc_u32_e32 v28, 0x438, v92
	v_lshlrev_b64 v[10:11], 4, v[14:15]
	v_mov_b32_e32 v6, v8
	v_add_co_u32 v4, s1, v42, v4
	v_mad_u64_u32 v[12:13], null, s2, v28, 0
	v_add_co_ci_u32_e64 v5, s1, v43, v5, s1
	v_mov_b32_e32 v23, v9
	v_mad_u64_u32 v[8:9], null, s3, v29, v[6:7]
	v_add_co_u32 v9, s1, v42, v10
	v_add_co_ci_u32_e64 v10, s1, v43, v11, s1
	v_add_nc_u32_e32 v11, 0x4a4, v92
	v_mov_b32_e32 v6, v13
	v_lshlrev_b64 v[14:15], 4, v[22:23]
	s_clause 0x1
	global_load_dwordx4 v[52:55], v[4:5], off
	global_load_dwordx4 v[48:51], v[9:10], off
	v_mad_u64_u32 v[20:21], null, s2, v11, 0
	v_mad_u64_u32 v[22:23], null, s3, v28, v[6:7]
	v_lshlrev_b64 v[6:7], 4, v[7:8]
	v_add_co_u32 v14, s1, v42, v14
	v_add_co_ci_u32_e64 v15, s1, v43, v15, s1
	v_mov_b32_e32 v8, v21
	v_mov_b32_e32 v13, v22
	v_mad_u64_u32 v[22:23], null, s2, v31, 0
	v_add_co_u32 v6, s1, v42, v6
	v_mad_u64_u32 v[28:29], null, s3, v11, v[8:9]
	v_mad_u64_u32 v[29:30], null, s2, v34, 0
	v_lshlrev_b64 v[11:12], 4, v[12:13]
	v_mov_b32_e32 v8, v23
	v_add_co_ci_u32_e64 v7, s1, v43, v7, s1
	v_mov_b32_e32 v21, v28
	v_add_nc_u32_e32 v13, 0x5e8, v92
	v_mad_u64_u32 v[31:32], null, s3, v31, v[8:9]
	v_add_co_u32 v32, s1, v42, v11
	v_mov_b32_e32 v8, v30
	v_add_co_ci_u32_e64 v33, s1, v43, v12, s1
	v_lshlrev_b64 v[11:12], 4, v[20:21]
	v_add_nc_u32_e32 v28, 0x654, v92
	v_mad_u64_u32 v[20:21], null, s3, v34, v[8:9]
	v_mad_u64_u32 v[34:35], null, s2, v13, 0
	v_mov_b32_e32 v23, v31
	v_add_co_u32 v36, s1, v42, v11
	v_add_nc_u32_e32 v31, 0x6c0, v92
	v_add_co_ci_u32_e64 v37, s1, v43, v12, s1
	v_mad_u64_u32 v[11:12], null, s2, v28, 0
	v_mov_b32_e32 v8, v35
	v_mad_u64_u32 v[38:39], null, s2, v31, 0
	v_lshlrev_b64 v[21:22], 4, v[22:23]
	v_mov_b32_e32 v30, v20
	v_mad_u64_u32 v[40:41], null, s3, v13, v[8:9]
	v_mov_b32_e32 v8, v12
	v_add_co_u32 v20, s1, v42, v21
	v_mov_b32_e32 v12, v39
	v_add_co_ci_u32_e64 v21, s1, v43, v22, s1
	v_mad_u64_u32 v[22:23], null, s3, v28, v[8:9]
	v_lshlrev_b64 v[28:29], 4, v[29:30]
	v_mad_u64_u32 v[30:31], null, s3, v31, v[12:13]
	v_mov_b32_e32 v35, v40
	v_mov_b32_e32 v12, v22
	v_add_co_u32 v22, s1, v42, v28
	v_lshlrev_b64 v[4:5], 4, v[34:35]
	v_mov_b32_e32 v39, v30
	v_lshlrev_b64 v[8:9], 4, v[11:12]
	v_add_co_ci_u32_e64 v23, s1, v43, v29, s1
	v_add_co_u32 v4, s1, v42, v4
	v_lshlrev_b64 v[10:11], 4, v[38:39]
	v_add_co_ci_u32_e64 v5, s1, v43, v5, s1
	v_add_co_u32 v68, s1, v42, v8
	v_add_co_ci_u32_e64 v69, s1, v43, v9, s1
	v_add_co_u32 v70, s1, v42, v10
	v_add_co_ci_u32_e64 v71, s1, v43, v11, s1
	s_clause 0x8
	global_load_dwordx4 v[12:15], v[14:15], off
	global_load_dwordx4 v[8:11], v[6:7], off
	;; [unrolled: 1-line block ×9, first 2 shown]
.LBB0_11:
	s_or_b32 exec_lo, exec_lo, s4
	s_and_saveexec_b32 s1, s0
	s_cbranch_execz .LBB0_13
; %bb.12:
	s_waitcnt vmcnt(0)
	v_add_f64 v[70:71], v[4:5], v[64:65]
	s_mov_b32 s4, 0x2b2883cd
	s_mov_b32 s5, 0x3fdc86fa
	v_add_f64 v[68:69], v[66:67], -v[6:7]
	v_add_f64 v[76:77], v[20:21], v[60:61]
	s_mov_b32 s10, 0x7c9e640b
	s_mov_b32 s22, 0x6ed5f1bb
	;; [unrolled: 1-line block ×12, first 2 shown]
	v_add_f64 v[72:73], v[62:63], -v[22:23]
	v_add_f64 v[80:81], v[28:29], v[56:57]
	v_add_f64 v[132:133], v[64:65], v[0:1]
	s_mov_b32 s6, 0x6c9a05f6
	s_mov_b32 s18, 0xeb564b22
	v_mul_f64 v[74:75], v[70:71], s[4:5]
	v_mul_f64 v[78:79], v[70:71], s[28:29]
	;; [unrolled: 1-line block ×7, first 2 shown]
	s_mov_b32 s16, 0x2a9d6da3
	s_mov_b32 s26, 0x7faef3
	;; [unrolled: 1-line block ×15, first 2 shown]
	v_fma_f64 v[116:117], v[68:69], s[10:11], v[74:75]
	s_mov_b32 s44, s40
	v_add_f64 v[84:85], v[58:59], -v[30:31]
	v_add_f64 v[86:87], v[32:33], v[24:25]
	v_mul_f64 v[90:91], v[76:77], s[20:21]
	v_fma_f64 v[118:119], v[68:69], s[16:17], v[78:79]
	v_mul_f64 v[104:105], v[76:77], s[38:39]
	v_fma_f64 v[120:121], v[68:69], s[42:43], v[96:97]
	v_mul_f64 v[102:103], v[80:81], s[26:27]
	v_mul_f64 v[106:107], v[76:77], s[26:27]
	;; [unrolled: 1-line block ×4, first 2 shown]
	v_fma_f64 v[122:123], v[72:73], s[14:15], v[88:89]
	v_fma_f64 v[124:125], v[68:69], s[18:19], v[98:99]
	;; [unrolled: 1-line block ×4, first 2 shown]
	v_add_f64 v[132:133], v[60:61], v[132:133]
	s_mov_b32 s24, 0xacd6c6b4
	s_mov_b32 s56, 0x370991
	;; [unrolled: 1-line block ×5, first 2 shown]
	v_add_f64 v[116:117], v[0:1], v[116:117]
	s_mov_b32 s49, 0x3feca52d
	s_mov_b32 s34, s24
	;; [unrolled: 1-line block ×3, first 2 shown]
	v_add_f64 v[82:83], v[26:27], -v[34:35]
	v_fma_f64 v[126:127], v[72:73], s[18:19], v[90:91]
	v_add_f64 v[118:119], v[0:1], v[118:119]
	v_mul_f64 v[134:135], v[80:81], s[28:29]
	v_fma_f64 v[136:137], v[72:73], s[40:41], v[104:105]
	v_add_f64 v[120:121], v[0:1], v[120:121]
	v_mul_f64 v[138:139], v[86:87], s[30:31]
	v_mul_f64 v[140:141], v[80:81], s[30:31]
	;; [unrolled: 1-line block ×4, first 2 shown]
	v_fma_f64 v[146:147], v[84:85], s[24:25], v[102:103]
	v_fma_f64 v[150:151], v[72:73], s[34:35], v[106:107]
	v_add_f64 v[124:125], v[0:1], v[124:125]
	v_fma_f64 v[152:153], v[72:73], s[48:49], v[114:115]
	v_add_f64 v[128:129], v[0:1], v[128:129]
	;; [unrolled: 2-line block ×3, first 2 shown]
	v_add_f64 v[156:157], v[36:37], v[16:17]
	v_add_f64 v[116:117], v[122:123], v[116:117]
	;; [unrolled: 1-line block ×3, first 2 shown]
	v_mul_f64 v[100:101], v[80:81], s[22:23]
	s_mov_b32 s50, 0x5d8e7cdc
	s_mov_b32 s47, 0x3fe58eea
	;; [unrolled: 1-line block ×4, first 2 shown]
	v_add_f64 v[118:119], v[126:127], v[118:119]
	v_mul_f64 v[126:127], v[86:87], s[4:5]
	v_fma_f64 v[158:159], v[84:85], s[46:47], v[134:135]
	v_add_f64 v[120:121], v[136:137], v[120:121]
	v_add_f64 v[136:137], v[18:19], -v[38:39]
	v_mul_f64 v[160:161], v[86:87], s[56:57]
	v_mul_f64 v[162:163], v[86:87], s[22:23]
	v_fma_f64 v[166:167], v[82:83], s[36:37], v[138:139]
	v_fma_f64 v[168:169], v[84:85], s[36:37], v[140:141]
	v_add_f64 v[124:125], v[150:151], v[124:125]
	v_fma_f64 v[150:151], v[84:85], s[18:19], v[142:143]
	v_add_f64 v[128:129], v[152:153], v[128:129]
	;; [unrolled: 2-line block ×3, first 2 shown]
	v_mul_f64 v[154:155], v[156:157], s[28:29]
	v_add_f64 v[116:117], v[146:147], v[116:117]
	v_add_f64 v[132:133], v[24:25], v[132:133]
	v_fma_f64 v[148:149], v[84:85], s[14:15], v[100:101]
	v_mul_f64 v[122:123], v[86:87], s[26:27]
	s_mov_b32 s53, 0x3fd71e95
	s_mov_b32 s52, s50
	v_mul_f64 v[176:177], v[156:157], s[4:5]
	v_mul_f64 v[178:179], v[156:157], s[56:57]
	v_fma_f64 v[172:173], v[82:83], s[10:11], v[126:127]
	v_mul_f64 v[164:165], v[86:87], s[38:39]
	v_add_f64 v[120:121], v[158:159], v[120:121]
	v_add_f64 v[158:159], v[40:41], v[52:53]
	v_fma_f64 v[180:181], v[82:83], s[52:53], v[160:161]
	v_mul_f64 v[146:147], v[70:71], s[26:27]
	v_add_f64 v[184:185], v[54:55], -v[42:43]
	v_add_f64 v[190:191], v[44:45], v[48:49]
	v_add_f64 v[124:125], v[168:169], v[124:125]
	v_fma_f64 v[168:169], v[82:83], s[6:7], v[162:163]
	v_add_f64 v[128:129], v[150:151], v[128:129]
	v_mul_f64 v[170:171], v[156:157], s[38:39]
	v_add_f64 v[130:131], v[152:153], v[130:131]
	v_fma_f64 v[152:153], v[136:137], s[46:47], v[154:155]
	v_add_f64 v[116:117], v[166:167], v[116:117]
	v_add_f64 v[132:133], v[16:17], v[132:133]
	v_add_f64 v[118:119], v[148:149], v[118:119]
	v_fma_f64 v[148:149], v[82:83], s[34:35], v[122:123]
	v_mul_f64 v[166:167], v[76:77], s[56:57]
	s_mov_b32 s55, 0x3fefdd0d
	v_fma_f64 v[198:199], v[136:137], s[10:11], v[176:177]
	s_mov_b32 s54, s18
	v_add_f64 v[204:205], v[50:51], -v[46:47]
	v_fma_f64 v[150:151], v[82:83], s[44:45], v[164:165]
	v_add_f64 v[120:121], v[172:173], v[120:121]
	v_mul_f64 v[172:173], v[158:159], s[38:39]
	v_mul_f64 v[70:71], v[70:71], s[56:57]
	v_fma_f64 v[182:183], v[68:69], s[24:25], v[146:147]
	v_fma_f64 v[112:113], v[68:69], s[40:41], v[112:113]
	v_mul_f64 v[212:213], v[190:191], s[22:23]
	v_add_f64 v[124:125], v[180:181], v[124:125]
	v_fma_f64 v[180:181], v[136:137], s[50:51], v[178:179]
	v_add_f64 v[128:129], v[168:169], v[128:129]
	v_fma_f64 v[186:187], v[136:137], s[40:41], v[170:171]
	v_mul_f64 v[188:189], v[158:159], s[56:57]
	v_fma_f64 v[146:147], v[68:69], s[34:35], v[146:147]
	v_add_f64 v[116:117], v[152:153], v[116:117]
	v_mul_f64 v[152:153], v[158:159], s[26:27]
	v_add_f64 v[132:133], v[52:53], v[132:133]
	v_add_f64 v[118:119], v[148:149], v[118:119]
	v_mul_f64 v[148:149], v[156:157], s[20:21]
	v_mul_f64 v[200:201], v[80:81], s[38:39]
	v_fma_f64 v[108:109], v[68:69], s[6:7], v[108:109]
	v_mul_f64 v[76:77], v[76:77], s[28:29]
	v_fma_f64 v[96:97], v[68:69], s[36:37], v[96:97]
	v_add_f64 v[130:131], v[150:151], v[130:131]
	v_fma_f64 v[150:151], v[72:73], s[50:51], v[166:167]
	v_fma_f64 v[210:211], v[184:185], s[44:45], v[172:173]
	;; [unrolled: 1-line block ×3, first 2 shown]
	v_add_f64 v[168:169], v[0:1], v[182:183]
	v_add_f64 v[112:113], v[0:1], v[112:113]
	v_mul_f64 v[202:203], v[158:159], s[28:29]
	v_add_f64 v[124:125], v[198:199], v[124:125]
	v_fma_f64 v[166:167], v[72:73], s[52:53], v[166:167]
	v_add_f64 v[128:129], v[180:181], v[128:129]
	v_fma_f64 v[98:99], v[68:69], s[54:55], v[98:99]
	v_fma_f64 v[74:75], v[68:69], s[48:49], v[74:75]
	v_add_f64 v[146:147], v[0:1], v[146:147]
	v_fma_f64 v[78:79], v[68:69], s[46:47], v[78:79]
	v_fma_f64 v[214:215], v[184:185], s[34:35], v[152:153]
	v_add_f64 v[132:133], v[48:49], v[132:133]
	v_add_f64 v[118:119], v[186:187], v[118:119]
	v_fma_f64 v[182:183], v[136:137], s[54:55], v[148:149]
	v_fma_f64 v[186:187], v[184:185], s[50:51], v[188:189]
	;; [unrolled: 1-line block ×3, first 2 shown]
	v_add_f64 v[108:109], v[0:1], v[108:109]
	v_mul_f64 v[80:81], v[80:81], s[4:5]
	v_fma_f64 v[104:105], v[72:73], s[44:45], v[104:105]
	v_add_f64 v[96:97], v[0:1], v[96:97]
	v_fma_f64 v[106:107], v[72:73], s[24:25], v[106:107]
	v_fma_f64 v[88:89], v[72:73], s[6:7], v[88:89]
	v_add_f64 v[150:151], v[150:151], v[168:169]
	v_fma_f64 v[168:169], v[84:85], s[40:41], v[200:201]
	v_add_f64 v[112:113], v[114:115], v[112:113]
	v_add_f64 v[124:125], v[210:211], v[124:125]
	v_fma_f64 v[210:211], v[204:205], s[6:7], v[212:213]
	v_fma_f64 v[200:201], v[84:85], s[44:45], v[200:201]
	v_add_f64 v[98:99], v[0:1], v[98:99]
	v_add_f64 v[74:75], v[0:1], v[74:75]
	;; [unrolled: 1-line block ×3, first 2 shown]
	v_fma_f64 v[90:91], v[72:73], s[54:55], v[90:91]
	v_add_f64 v[128:129], v[214:215], v[128:129]
	v_fma_f64 v[214:215], v[68:69], s[50:51], v[70:71]
	v_add_f64 v[132:133], v[12:13], v[132:133]
	v_add_f64 v[130:131], v[182:183], v[130:131]
	v_mul_f64 v[182:183], v[86:87], s[28:29]
	v_fma_f64 v[68:69], v[68:69], s[52:53], v[70:71]
	v_add_f64 v[116:117], v[186:187], v[116:117]
	v_fma_f64 v[186:187], v[184:185], s[16:17], v[202:203]
	v_add_f64 v[78:79], v[0:1], v[78:79]
	v_mul_f64 v[174:175], v[156:157], s[26:27]
	v_add_f64 v[108:109], v[110:111], v[108:109]
	v_fma_f64 v[110:111], v[84:85], s[52:53], v[144:145]
	v_mul_f64 v[86:87], v[86:87], s[20:21]
	v_add_f64 v[150:151], v[168:169], v[150:151]
	v_add_f64 v[96:97], v[104:105], v[96:97]
	v_fma_f64 v[104:105], v[84:85], s[16:17], v[134:135]
	v_add_f64 v[124:125], v[210:211], v[124:125]
	v_mul_f64 v[192:193], v[158:159], s[30:31]
	v_add_f64 v[98:99], v[106:107], v[98:99]
	v_fma_f64 v[106:107], v[84:85], s[42:43], v[140:141]
	v_add_f64 v[146:147], v[200:201], v[146:147]
	v_add_f64 v[74:75], v[88:89], v[74:75]
	v_fma_f64 v[88:89], v[84:85], s[34:35], v[102:103]
	v_add_f64 v[210:211], v[0:1], v[214:215]
	v_fma_f64 v[214:215], v[72:73], s[16:17], v[76:77]
	;; [unrolled: 2-line block ×3, first 2 shown]
	v_fma_f64 v[72:73], v[72:73], s[46:47], v[76:77]
	v_add_f64 v[0:1], v[0:1], v[68:69]
	v_fma_f64 v[132:133], v[84:85], s[54:55], v[142:143]
	v_fma_f64 v[76:77], v[84:85], s[10:11], v[80:81]
	v_add_f64 v[130:131], v[186:187], v[130:131]
	v_mul_f64 v[186:187], v[156:157], s[22:23]
	v_add_f64 v[78:79], v[90:91], v[78:79]
	v_fma_f64 v[90:91], v[84:85], s[6:7], v[100:101]
	v_fma_f64 v[80:81], v[84:85], s[48:49], v[80:81]
	v_mul_f64 v[194:195], v[158:159], s[20:21]
	v_fma_f64 v[196:197], v[136:137], s[34:35], v[174:175]
	v_fma_f64 v[100:101], v[82:83], s[14:15], v[162:163]
	v_add_f64 v[108:109], v[110:111], v[108:109]
	v_fma_f64 v[110:111], v[82:83], s[40:41], v[164:165]
	v_add_f64 v[96:97], v[104:105], v[96:97]
	v_fma_f64 v[104:105], v[82:83], s[48:49], v[126:127]
	v_mul_f64 v[126:127], v[156:157], s[30:31]
	v_add_f64 v[98:99], v[106:107], v[98:99]
	v_fma_f64 v[106:107], v[82:83], s[50:51], v[160:161]
	v_add_f64 v[142:143], v[214:215], v[210:211]
	v_add_f64 v[114:115], v[44:45], v[114:115]
	;; [unrolled: 1-line block ×3, first 2 shown]
	v_fma_f64 v[168:169], v[82:83], s[46:47], v[182:183]
	v_add_f64 v[0:1], v[72:73], v[0:1]
	v_add_f64 v[102:103], v[132:133], v[112:113]
	v_fma_f64 v[112:113], v[82:83], s[18:19], v[86:87]
	v_add_f64 v[74:75], v[88:89], v[74:75]
	v_fma_f64 v[140:141], v[136:137], s[14:15], v[186:187]
	v_fma_f64 v[88:89], v[82:83], s[42:43], v[138:139]
	v_add_f64 v[78:79], v[90:91], v[78:79]
	v_fma_f64 v[90:91], v[82:83], s[24:25], v[122:123]
	;; [unrolled: 3-line block ×3, first 2 shown]
	v_mul_f64 v[208:209], v[190:191], s[4:5]
	v_fma_f64 v[198:199], v[184:185], s[54:55], v[194:195]
	v_mul_f64 v[180:181], v[190:191], s[56:57]
	v_fma_f64 v[150:151], v[136:137], s[6:7], v[186:187]
	v_add_f64 v[108:109], v[110:111], v[108:109]
	v_fma_f64 v[86:87], v[136:137], s[52:53], v[178:179]
	v_add_f64 v[96:97], v[104:105], v[96:97]
	v_add_f64 v[76:77], v[76:77], v[142:143]
	;; [unrolled: 1-line block ×3, first 2 shown]
	v_fma_f64 v[104:105], v[136:137], s[42:43], v[126:127]
	v_add_f64 v[134:135], v[168:169], v[146:147]
	v_add_f64 v[0:1], v[80:81], v[0:1]
	;; [unrolled: 1-line block ×3, first 2 shown]
	v_mul_f64 v[102:103], v[158:159], s[4:5]
	v_mul_f64 v[122:123], v[158:159], s[22:23]
	v_add_f64 v[98:99], v[106:107], v[98:99]
	v_fma_f64 v[144:145], v[136:137], s[48:49], v[176:177]
	v_add_f64 v[74:75], v[88:89], v[74:75]
	v_fma_f64 v[146:147], v[136:137], s[16:17], v[154:155]
	;; [unrolled: 2-line block ×3, first 2 shown]
	v_fma_f64 v[126:127], v[136:137], s[36:37], v[126:127]
	v_mul_f64 v[206:207], v[190:191], s[20:21]
	v_add_f64 v[68:69], v[8:9], v[12:13]
	v_add_f64 v[118:119], v[196:197], v[118:119]
	v_fma_f64 v[196:197], v[204:205], s[48:49], v[208:209]
	v_add_f64 v[120:121], v[198:199], v[120:121]
	v_fma_f64 v[198:199], v[204:205], s[50:51], v[180:181]
	v_mul_f64 v[218:219], v[190:191], s[28:29]
	v_add_f64 v[76:77], v[112:113], v[76:77]
	v_fma_f64 v[112:113], v[136:137], s[18:19], v[148:149]
	v_add_f64 v[114:115], v[36:37], v[114:115]
	v_add_f64 v[134:135], v[140:141], v[134:135]
	v_fma_f64 v[140:141], v[136:137], s[24:25], v[174:175]
	v_add_f64 v[0:1], v[82:83], v[0:1]
	v_mul_f64 v[166:167], v[190:191], s[26:27]
	v_add_f64 v[70:71], v[150:151], v[70:71]
	v_fma_f64 v[148:149], v[184:185], s[10:11], v[102:103]
	v_mul_f64 v[136:137], v[190:191], s[30:31]
	v_fma_f64 v[102:103], v[184:185], s[48:49], v[102:103]
	v_add_f64 v[86:87], v[86:87], v[100:101]
	v_fma_f64 v[150:151], v[184:185], s[24:25], v[152:153]
	v_mul_f64 v[152:153], v[190:191], s[38:39]
	v_add_f64 v[98:99], v[144:145], v[98:99]
	v_fma_f64 v[144:145], v[184:185], s[40:41], v[172:173]
	v_add_f64 v[74:75], v[146:147], v[74:75]
	v_fma_f64 v[146:147], v[184:185], s[52:53], v[188:189]
	;; [unrolled: 2-line block ×3, first 2 shown]
	v_fma_f64 v[216:217], v[204:205], s[18:19], v[206:207]
	v_add_f64 v[84:85], v[14:15], -v[10:11]
	v_add_f64 v[76:77], v[104:105], v[76:77]
	v_add_f64 v[108:109], v[112:113], v[108:109]
	v_fma_f64 v[112:113], v[184:185], s[46:47], v[202:203]
	v_fma_f64 v[104:105], v[184:185], s[14:15], v[122:123]
	v_add_f64 v[114:115], v[32:33], v[114:115]
	v_add_f64 v[96:97], v[140:141], v[96:97]
	v_fma_f64 v[140:141], v[184:185], s[18:19], v[194:195]
	v_fma_f64 v[122:123], v[184:185], s[6:7], v[122:123]
	v_add_f64 v[0:1], v[126:127], v[0:1]
	v_mul_f64 v[72:73], v[68:69], s[38:39]
	v_mul_f64 v[132:133], v[68:69], s[56:57]
	;; [unrolled: 1-line block ×4, first 2 shown]
	v_add_f64 v[118:119], v[196:197], v[118:119]
	v_add_f64 v[120:121], v[198:199], v[120:121]
	v_fma_f64 v[196:197], v[204:205], s[46:47], v[218:219]
	v_fma_f64 v[198:199], v[204:205], s[34:35], v[166:167]
	v_mul_f64 v[82:83], v[68:69], s[30:31]
	v_mul_f64 v[100:101], v[68:69], s[4:5]
	v_add_f64 v[70:71], v[148:149], v[70:71]
	v_fma_f64 v[148:149], v[204:205], s[36:37], v[136:137]
	v_mul_f64 v[126:127], v[68:69], s[20:21]
	v_add_f64 v[102:103], v[102:103], v[134:135]
	v_fma_f64 v[134:135], v[204:205], s[42:43], v[136:137]
	v_add_f64 v[86:87], v[150:151], v[86:87]
	v_fma_f64 v[136:137], v[204:205], s[16:17], v[218:219]
	;; [unrolled: 2-line block ×4, first 2 shown]
	v_mul_f64 v[68:69], v[68:69], s[26:27]
	v_add_f64 v[114:115], v[28:29], v[114:115]
	v_add_f64 v[96:97], v[140:141], v[96:97]
	v_fma_f64 v[140:141], v[204:205], s[52:53], v[180:181]
	v_add_f64 v[98:99], v[144:145], v[98:99]
	v_fma_f64 v[144:145], v[204:205], s[14:15], v[212:213]
	;; [unrolled: 2-line block ×4, first 2 shown]
	v_fma_f64 v[152:153], v[204:205], s[40:41], v[152:153]
	v_add_f64 v[0:1], v[122:123], v[0:1]
	v_add_f64 v[116:117], v[216:217], v[116:117]
	v_fma_f64 v[80:81], v[84:85], s[44:45], v[72:73]
	v_fma_f64 v[110:111], v[84:85], s[52:53], v[132:133]
	;; [unrolled: 1-line block ×4, first 2 shown]
	v_add_f64 v[128:129], v[196:197], v[128:129]
	v_add_f64 v[130:131], v[198:199], v[130:131]
	v_fma_f64 v[150:151], v[84:85], s[42:43], v[82:83]
	v_fma_f64 v[122:123], v[84:85], s[48:49], v[100:101]
	v_add_f64 v[70:71], v[148:149], v[70:71]
	v_fma_f64 v[148:149], v[84:85], s[18:19], v[126:127]
	v_add_f64 v[102:103], v[134:135], v[102:103]
	;; [unrolled: 2-line block ×6, first 2 shown]
	v_add_f64 v[96:97], v[140:141], v[96:97]
	v_fma_f64 v[114:115], v[84:85], s[6:7], v[142:143]
	v_add_f64 v[98:99], v[144:145], v[98:99]
	v_fma_f64 v[134:135], v[84:85], s[16:17], v[138:139]
	;; [unrolled: 2-line block ×4, first 2 shown]
	v_fma_f64 v[68:69], v[84:85], s[24:25], v[68:69]
	v_add_f64 v[0:1], v[152:153], v[0:1]
	v_add_f64 v[80:81], v[80:81], v[116:117]
	;; [unrolled: 1-line block ×18, first 2 shown]
	v_mad_u32_u24 v68, 0x88, v92, 0
	ds_write2_b64 v68, v[84:85], v[80:81] offset0:2 offset1:3
	ds_write2_b64 v68, v[88:89], v[106:107] offset0:4 offset1:5
	;; [unrolled: 1-line block ×5, first 2 shown]
	ds_write2_b64 v68, v[100:101], v[76:77] offset1:1
	ds_write2_b64 v68, v[96:97], v[98:99] offset0:12 offset1:13
	ds_write2_b64 v68, v[72:73], v[74:75] offset0:14 offset1:15
	ds_write_b64 v68, v[0:1] offset:128
.LBB0_13:
	s_or_b32 exec_lo, exec_lo, s1
	v_lshl_add_u32 v96, v92, 3, 0
	s_waitcnt vmcnt(0) lgkmcnt(0)
	s_barrier
	buffer_gl0_inv
	v_add_nc_u32_e32 v98, 0x1000, v96
	v_add_nc_u32_e32 v99, 0x2400, v96
	;; [unrolled: 1-line block ×5, first 2 shown]
	ds_read2_b64 v[68:71], v96 offset1:153
	ds_read2_b64 v[84:87], v98 offset0:100 offset1:253
	ds_read2_b64 v[88:91], v99 offset0:72 offset1:225
	ds_read2_b64 v[72:75], v97 offset0:50 offset1:203
	ds_read2_b64 v[76:79], v100 offset0:22 offset1:175
	ds_read2_b64 v[80:83], v101 offset0:58 offset1:211
	s_waitcnt lgkmcnt(0)
	s_barrier
	buffer_gl0_inv
	s_and_saveexec_b32 s33, s0
	s_cbranch_execz .LBB0_15
; %bb.14:
	v_add_f64 v[0:1], v[66:67], v[2:3]
	v_add_f64 v[4:5], v[64:65], -v[4:5]
	s_mov_b32 s26, 0x5d8e7cdc
	s_mov_b32 s44, 0x2a9d6da3
	;; [unrolled: 1-line block ×14, first 2 shown]
	v_add_f64 v[66:67], v[6:7], v[66:67]
	s_mov_b32 s34, 0xacd6c6b4
	v_add_f64 v[20:21], v[60:61], -v[20:21]
	v_add_f64 v[60:61], v[30:31], v[58:59]
	v_add_f64 v[28:29], v[56:57], -v[28:29]
	v_add_f64 v[56:57], v[34:35], v[26:27]
	v_add_f64 v[0:1], v[62:63], v[0:1]
	v_add_f64 v[44:45], v[48:49], -v[44:45]
	v_mul_f64 v[48:49], v[4:5], s[26:27]
	v_mul_f64 v[64:65], v[4:5], s[30:31]
	;; [unrolled: 1-line block ×3, first 2 shown]
	s_mov_b32 s35, 0xbfc7851a
	v_mul_f64 v[104:105], v[4:5], s[24:25]
	v_mul_f64 v[106:107], v[4:5], s[28:29]
	s_mov_b32 s0, 0x370991
	s_mov_b32 s4, 0x75d4884
	;; [unrolled: 1-line block ×14, first 2 shown]
	v_add_f64 v[0:1], v[58:59], v[0:1]
	v_mul_f64 v[58:59], v[4:5], s[46:47]
	s_mov_b32 s17, 0xbfe348c8
	s_mov_b32 s19, 0xbfeb34fa
	;; [unrolled: 1-line block ×7, first 2 shown]
	v_add_f64 v[62:63], v[22:23], v[62:63]
	v_add_f64 v[16:17], v[16:17], -v[36:37]
	v_mul_f64 v[108:109], v[20:21], s[44:45]
	v_mul_f64 v[110:111], v[20:21], s[30:31]
	;; [unrolled: 1-line block ×5, first 2 shown]
	v_fma_f64 v[178:179], v[66:67], s[0:1], -v[48:49]
	v_fma_f64 v[48:49], v[66:67], s[0:1], v[48:49]
	v_fma_f64 v[184:185], v[66:67], s[10:11], -v[64:65]
	v_fma_f64 v[64:65], v[66:67], s[10:11], v[64:65]
	v_fma_f64 v[186:187], v[66:67], s[14:15], -v[102:103]
	s_mov_b32 s23, 0xbfef7484
	v_add_f64 v[0:1], v[26:27], v[0:1]
	v_mul_f64 v[26:27], v[4:5], s[44:45]
	v_mul_f64 v[4:5], v[4:5], s[34:35]
	v_fma_f64 v[182:183], v[66:67], s[6:7], -v[58:59]
	v_fma_f64 v[58:59], v[66:67], s[6:7], v[58:59]
	s_mov_b32 s39, 0x3fd71e95
	s_mov_b32 s38, s26
	v_mul_f64 v[118:119], v[20:21], s[52:53]
	v_mul_f64 v[120:121], v[20:21], s[36:37]
	v_fma_f64 v[188:189], v[66:67], s[16:17], -v[104:105]
	v_fma_f64 v[104:105], v[66:67], s[16:17], v[104:105]
	v_fma_f64 v[190:191], v[66:67], s[18:19], -v[106:107]
	v_fma_f64 v[106:107], v[66:67], s[18:19], v[106:107]
	v_add_f64 v[40:41], v[52:53], -v[40:41]
	v_add_f64 v[52:53], v[46:47], v[50:51]
	v_mul_f64 v[20:21], v[20:21], s[38:39]
	v_fma_f64 v[102:103], v[66:67], s[14:15], v[102:103]
	s_mov_b32 s55, 0x3fc7851a
	s_mov_b32 s41, 0x3fe58eea
	;; [unrolled: 1-line block ×4, first 2 shown]
	v_add_f64 v[24:25], v[24:25], -v[32:33]
	v_add_f64 v[0:1], v[18:19], v[0:1]
	v_fma_f64 v[180:181], v[66:67], s[4:5], -v[26:27]
	v_fma_f64 v[26:27], v[66:67], s[4:5], v[26:27]
	v_add_f64 v[32:33], v[38:39], v[18:19]
	v_mul_f64 v[122:123], v[28:29], s[46:47]
	v_mul_f64 v[124:125], v[28:29], s[24:25]
	;; [unrolled: 1-line block ×6, first 2 shown]
	v_fma_f64 v[192:193], v[62:63], s[10:11], -v[110:111]
	v_fma_f64 v[110:111], v[62:63], s[10:11], v[110:111]
	v_fma_f64 v[194:195], v[62:63], s[16:17], -v[112:113]
	v_fma_f64 v[112:113], v[62:63], s[16:17], v[112:113]
	;; [unrolled: 2-line block ×3, first 2 shown]
	v_fma_f64 v[198:199], v[62:63], s[18:19], -v[116:117]
	v_add_f64 v[178:179], v[2:3], v[178:179]
	v_add_f64 v[48:49], v[2:3], v[48:49]
	;; [unrolled: 1-line block ×9, first 2 shown]
	v_mul_f64 v[18:19], v[28:29], s[30:31]
	v_fma_f64 v[200:201], v[62:63], s[14:15], -v[118:119]
	v_fma_f64 v[118:119], v[62:63], s[14:15], v[118:119]
	v_fma_f64 v[202:203], v[62:63], s[6:7], -v[120:121]
	v_add_f64 v[104:105], v[2:3], v[104:105]
	v_add_f64 v[190:191], v[2:3], v[190:191]
	v_fma_f64 v[120:121], v[62:63], s[6:7], v[120:121]
	v_add_f64 v[106:107], v[2:3], v[106:107]
	v_mul_f64 v[132:133], v[28:29], s[26:27]
	v_mul_f64 v[28:29], v[28:29], s[28:29]
	v_fma_f64 v[204:205], v[62:63], s[0:1], -v[20:21]
	v_fma_f64 v[20:21], v[62:63], s[0:1], v[20:21]
	v_add_f64 v[184:185], v[2:3], v[184:185]
	v_add_f64 v[102:103], v[2:3], v[102:103]
	;; [unrolled: 1-line block ×3, first 2 shown]
	s_mov_b32 s49, 0x3fe9895b
	s_mov_b32 s43, 0x3fefdd0d
	;; [unrolled: 1-line block ×3, first 2 shown]
	v_add_f64 v[0:1], v[50:51], v[0:1]
	v_fma_f64 v[50:51], v[66:67], s[22:23], -v[4:5]
	v_fma_f64 v[4:5], v[66:67], s[22:23], v[4:5]
	v_fma_f64 v[66:67], v[62:63], s[4:5], -v[108:109]
	v_fma_f64 v[108:109], v[62:63], s[4:5], v[108:109]
	s_mov_b32 s42, s30
	v_add_f64 v[36:37], v[42:43], v[54:55]
	v_mul_f64 v[134:135], v[24:25], s[30:31]
	v_mul_f64 v[136:137], v[24:25], s[34:35]
	;; [unrolled: 1-line block ×5, first 2 shown]
	v_fma_f64 v[116:117], v[62:63], s[18:19], v[116:117]
	v_fma_f64 v[62:63], v[60:61], s[6:7], -v[122:123]
	v_fma_f64 v[122:123], v[60:61], s[6:7], v[122:123]
	v_fma_f64 v[206:207], v[60:61], s[16:17], -v[124:125]
	;; [unrolled: 2-line block ×5, first 2 shown]
	v_add_f64 v[0:1], v[14:15], v[0:1]
	v_add_f64 v[50:51], v[2:3], v[50:51]
	;; [unrolled: 1-line block ×3, first 2 shown]
	v_fma_f64 v[242:243], v[32:33], s[0:1], -v[160:161]
	v_add_f64 v[4:5], v[66:67], v[178:179]
	v_add_f64 v[48:49], v[108:109], v[48:49]
	;; [unrolled: 1-line block ×7, first 2 shown]
	v_mul_f64 v[144:145], v[24:25], s[28:29]
	v_mul_f64 v[146:147], v[24:25], s[48:49]
	;; [unrolled: 1-line block ×10, first 2 shown]
	v_fma_f64 v[216:217], v[60:61], s[10:11], -v[18:19]
	v_add_f64 v[0:1], v[10:11], v[0:1]
	v_add_f64 v[104:105], v[118:119], v[104:105]
	;; [unrolled: 1-line block ×3, first 2 shown]
	v_fma_f64 v[18:19], v[60:61], s[10:11], v[18:19]
	v_add_f64 v[106:107], v[120:121], v[106:107]
	v_fma_f64 v[218:219], v[60:61], s[18:19], -v[28:29]
	v_fma_f64 v[28:29], v[60:61], s[18:19], v[28:29]
	v_add_f64 v[2:3], v[20:21], v[2:3]
	v_fma_f64 v[130:131], v[60:61], s[4:5], v[130:131]
	v_fma_f64 v[214:215], v[60:61], s[0:1], -v[132:133]
	v_fma_f64 v[132:133], v[60:61], s[0:1], v[132:133]
	v_fma_f64 v[60:61], v[56:57], s[10:11], -v[134:135]
	v_fma_f64 v[134:135], v[56:57], s[10:11], v[134:135]
	v_fma_f64 v[220:221], v[56:57], s[22:23], -v[136:137]
	v_fma_f64 v[222:223], v[56:57], s[14:15], -v[138:139]
	v_fma_f64 v[138:139], v[56:57], s[14:15], v[138:139]
	v_fma_f64 v[224:225], v[56:57], s[0:1], -v[140:141]
	v_fma_f64 v[140:141], v[56:57], s[0:1], v[140:141]
	v_fma_f64 v[226:227], v[56:57], s[6:7], -v[142:143]
	v_add_f64 v[50:51], v[204:205], v[50:51]
	v_add_f64 v[4:5], v[62:63], v[4:5]
	;; [unrolled: 1-line block ×9, first 2 shown]
	v_fma_f64 v[136:137], v[56:57], s[22:23], v[136:137]
	v_fma_f64 v[142:143], v[56:57], s[6:7], v[142:143]
	v_fma_f64 v[228:229], v[56:57], s[18:19], -v[144:145]
	v_fma_f64 v[144:145], v[56:57], s[18:19], v[144:145]
	v_fma_f64 v[230:231], v[56:57], s[16:17], -v[146:147]
	;; [unrolled: 2-line block ×7, first 2 shown]
	v_fma_f64 v[154:155], v[32:33], s[6:7], v[154:155]
	v_add_f64 v[0:1], v[42:43], v[0:1]
	v_fma_f64 v[42:43], v[32:33], s[0:1], v[160:161]
	v_add_f64 v[160:161], v[198:199], v[186:187]
	v_fma_f64 v[46:47], v[32:33], s[22:23], -v[156:157]
	v_fma_f64 v[156:157], v[32:33], s[22:23], v[156:157]
	v_fma_f64 v[240:241], v[32:33], s[10:11], -v[158:159]
	v_fma_f64 v[158:159], v[32:33], s[10:11], v[158:159]
	;; [unrolled: 2-line block ×3, first 2 shown]
	v_add_f64 v[32:33], v[196:197], v[184:185]
	v_add_f64 v[102:103], v[116:117], v[102:103]
	;; [unrolled: 1-line block ×6, first 2 shown]
	v_mul_f64 v[162:163], v[40:41], s[24:25]
	v_mul_f64 v[164:165], v[40:41], s[52:53]
	;; [unrolled: 1-line block ×7, first 2 shown]
	v_add_f64 v[0:1], v[38:39], v[0:1]
	v_mul_f64 v[40:41], v[40:41], s[36:37]
	v_add_f64 v[124:125], v[212:213], v[160:161]
	v_add_f64 v[104:105], v[132:133], v[104:105]
	;; [unrolled: 1-line block ×16, first 2 shown]
	v_fma_f64 v[112:113], v[36:37], s[16:17], -v[162:163]
	v_fma_f64 v[114:115], v[36:37], s[16:17], v[162:163]
	v_fma_f64 v[38:39], v[36:37], s[14:15], -v[164:165]
	v_fma_f64 v[66:67], v[36:37], s[14:15], v[164:165]
	v_add_f64 v[0:1], v[34:35], v[0:1]
	v_fma_f64 v[108:109], v[36:37], s[0:1], -v[166:167]
	v_add_f64 v[124:125], v[226:227], v[124:125]
	v_fma_f64 v[120:121], v[36:37], s[0:1], v[166:167]
	v_fma_f64 v[122:123], v[36:37], s[18:19], -v[54:55]
	v_fma_f64 v[34:35], v[36:37], s[18:19], v[54:55]
	v_fma_f64 v[54:55], v[36:37], s[10:11], -v[168:169]
	;; [unrolled: 2-line block ×3, first 2 shown]
	v_fma_f64 v[106:107], v[36:37], s[4:5], v[170:171]
	v_add_f64 v[104:105], v[144:145], v[104:105]
	v_add_f64 v[50:51], v[232:233], v[50:51]
	;; [unrolled: 1-line block ×6, first 2 shown]
	v_fma_f64 v[48:49], v[36:37], s[22:23], v[172:173]
	v_add_f64 v[56:57], v[152:153], v[58:59]
	v_fma_f64 v[58:59], v[36:37], s[6:7], -v[40:41]
	v_mul_f64 v[174:175], v[44:45], s[28:29]
	v_mul_f64 v[176:177], v[44:45], s[36:37]
	v_add_f64 v[32:33], v[224:225], v[32:33]
	v_add_f64 v[0:1], v[30:31], v[0:1]
	v_fma_f64 v[30:31], v[36:37], s[22:23], -v[172:173]
	v_fma_f64 v[36:37], v[36:37], s[6:7], v[40:41]
	v_add_f64 v[40:41], v[154:155], v[64:65]
	v_add_f64 v[46:47], v[46:47], v[124:125]
	;; [unrolled: 1-line block ×12, first 2 shown]
	v_mul_f64 v[50:51], v[44:45], s[48:49]
	v_add_f64 v[8:9], v[12:13], -v[8:9]
	v_add_f64 v[38:39], v[120:121], v[56:57]
	v_mul_f64 v[56:57], v[44:45], s[26:27]
	v_fma_f64 v[64:65], v[52:53], s[18:19], -v[174:175]
	v_add_f64 v[4:5], v[112:113], v[4:5]
	v_add_f64 v[32:33], v[238:239], v[32:33]
	;; [unrolled: 1-line block ×3, first 2 shown]
	v_mul_f64 v[22:23], v[44:45], s[30:31]
	v_add_f64 v[10:11], v[10:11], v[14:15]
	v_add_f64 v[34:35], v[34:35], v[40:41]
	v_mul_f64 v[40:41], v[44:45], s[34:35]
	v_add_f64 v[46:47], v[54:55], v[46:47]
	v_mul_f64 v[54:55], v[44:45], s[40:41]
	v_mul_f64 v[44:45], v[44:45], s[20:21]
	v_add_f64 v[102:103], v[156:157], v[102:103]
	v_add_f64 v[24:25], v[66:67], v[26:27]
	;; [unrolled: 1-line block ×3, first 2 shown]
	v_fma_f64 v[28:29], v[52:53], s[18:19], v[174:175]
	v_add_f64 v[12:13], v[30:31], v[118:119]
	v_fma_f64 v[30:31], v[52:53], s[6:7], -v[176:177]
	v_add_f64 v[18:19], v[48:49], v[18:19]
	v_fma_f64 v[48:49], v[52:53], s[6:7], v[176:177]
	v_add_f64 v[116:117], v[240:241], v[116:117]
	v_add_f64 v[2:3], v[36:37], v[2:3]
	v_add_f64 v[66:67], v[106:107], v[104:105]
	v_mul_f64 v[14:15], v[8:9], s[34:35]
	v_add_f64 v[42:43], v[58:59], v[42:43]
	v_add_f64 v[32:33], v[122:123], v[32:33]
	;; [unrolled: 1-line block ×3, first 2 shown]
	v_fma_f64 v[36:37], v[52:53], s[10:11], -v[22:23]
	v_fma_f64 v[22:23], v[52:53], s[10:11], v[22:23]
	v_fma_f64 v[58:59], v[52:53], s[0:1], -v[56:57]
	v_fma_f64 v[56:57], v[52:53], s[0:1], v[56:57]
	;; [unrolled: 2-line block ×4, first 2 shown]
	v_add_f64 v[60:61], v[60:61], v[102:103]
	v_fma_f64 v[102:103], v[52:53], s[4:5], -v[54:55]
	v_add_f64 v[16:17], v[28:29], v[16:17]
	v_fma_f64 v[28:29], v[52:53], s[16:17], -v[50:51]
	v_fma_f64 v[50:51], v[52:53], s[16:17], v[50:51]
	v_fma_f64 v[54:55], v[52:53], s[4:5], v[54:55]
	v_mul_f64 v[52:53], v[8:9], s[38:39]
	v_add_f64 v[20:21], v[30:31], v[20:21]
	v_mul_f64 v[30:31], v[8:9], s[28:29]
	v_mul_f64 v[106:107], v[8:9], s[40:41]
	v_add_f64 v[24:25], v[48:49], v[24:25]
	v_mul_f64 v[48:49], v[8:9], s[24:25]
	v_add_f64 v[62:63], v[62:63], v[116:117]
	;; [unrolled: 2-line block ×3, first 2 shown]
	v_mul_f64 v[36:37], v[8:9], s[20:21]
	v_mul_f64 v[8:9], v[8:9], s[42:43]
	v_add_f64 v[22:23], v[22:23], v[38:39]
	v_add_f64 v[0:1], v[6:7], v[0:1]
	;; [unrolled: 1-line block ×5, first 2 shown]
	v_fma_f64 v[44:45], v[10:11], s[22:23], -v[14:15]
	v_add_f64 v[38:39], v[56:57], v[60:61]
	v_add_f64 v[12:13], v[102:103], v[12:13]
	;; [unrolled: 1-line block ×5, first 2 shown]
	v_fma_f64 v[50:51], v[10:11], s[0:1], -v[52:53]
	v_add_f64 v[34:35], v[58:59], v[46:47]
	v_fma_f64 v[54:55], v[10:11], s[18:19], -v[30:31]
	v_fma_f64 v[52:53], v[10:11], s[0:1], v[52:53]
	v_fma_f64 v[56:57], v[10:11], s[4:5], -v[106:107]
	v_fma_f64 v[60:61], v[10:11], s[16:17], -v[48:49]
	v_add_f64 v[46:47], v[64:65], v[62:63]
	v_fma_f64 v[58:59], v[10:11], s[4:5], v[106:107]
	v_fma_f64 v[62:63], v[10:11], s[6:7], -v[108:109]
	v_fma_f64 v[66:67], v[10:11], s[14:15], -v[36:37]
	v_fma_f64 v[64:65], v[10:11], s[6:7], v[108:109]
	v_fma_f64 v[102:103], v[10:11], s[10:11], -v[8:9]
	v_fma_f64 v[8:9], v[10:11], s[10:11], v[8:9]
	v_fma_f64 v[36:37], v[10:11], s[14:15], v[36:37]
	;; [unrolled: 1-line block ×5, first 2 shown]
	v_add_f64 v[4:5], v[44:45], v[4:5]
	v_add_f64 v[6:7], v[50:51], v[20:21]
	;; [unrolled: 1-line block ×16, first 2 shown]
	v_lshl_add_u32 v16, v92, 7, v96
	ds_write2_b64 v16, v[0:1], v[4:5] offset1:1
	ds_write2_b64 v16, v[6:7], v[20:21] offset0:2 offset1:3
	ds_write2_b64 v16, v[24:25], v[28:29] offset0:4 offset1:5
	;; [unrolled: 1-line block ×7, first 2 shown]
	ds_write_b64 v16, v[10:11] offset:128
.LBB0_15:
	s_or_b32 exec_lo, exec_lo, s33
	v_and_b32_e32 v21, 0xff, v92
	v_add_nc_u32_e32 v24, 0x99, v92
	v_mov_b32_e32 v1, 0xf0f1
	v_add_nc_u32_e32 v25, 0x132, v92
	v_add_nc_u32_e32 v0, 0x1cb, v92
	v_mul_lo_u16 v2, 0xf1, v21
	v_mov_b32_e32 v93, 5
	v_mul_u32_u24_sdwa v3, v24, v1 dst_sel:DWORD dst_unused:UNUSED_PAD src0_sel:WORD_0 src1_sel:DWORD
	v_mul_u32_u24_sdwa v4, v25, v1 dst_sel:DWORD dst_unused:UNUSED_PAD src0_sel:WORD_0 src1_sel:DWORD
	;; [unrolled: 1-line block ×3, first 2 shown]
	v_lshrrev_b16 v22, 12, v2
	s_waitcnt lgkmcnt(0)
	v_lshrrev_b32_e32 v23, 20, v3
	v_lshrrev_b32_e32 v62, 20, v4
	;; [unrolled: 1-line block ×3, first 2 shown]
	v_mul_lo_u16 v2, v22, 17
	s_barrier
	v_mul_lo_u16 v1, v23, 17
	v_mul_lo_u16 v3, v62, 17
	buffer_gl0_inv
	v_sub_nc_u16 v111, v92, v2
	v_mul_lo_u16 v2, v110, 17
	v_sub_nc_u16 v112, v24, v1
	v_sub_nc_u16 v113, v25, v3
	v_mov_b32_e32 v63, 0xa0a1
	v_lshlrev_b32_sdwa v5, v93, v111 dst_sel:DWORD dst_unused:UNUSED_PAD src0_sel:DWORD src1_sel:BYTE_0
	v_sub_nc_u16 v114, v0, v2
	v_lshlrev_b32_sdwa v13, v93, v112 dst_sel:DWORD dst_unused:UNUSED_PAD src0_sel:DWORD src1_sel:WORD_0
	v_lshlrev_b32_sdwa v26, v93, v113 dst_sel:DWORD dst_unused:UNUSED_PAD src0_sel:DWORD src1_sel:WORD_0
	v_mov_b32_e32 v64, 0x198
	s_clause 0x1
	global_load_dwordx4 v[1:4], v5, s[8:9] offset:16
	global_load_dwordx4 v[5:8], v5, s[8:9]
	v_lshlrev_b32_sdwa v34, v93, v114 dst_sel:DWORD dst_unused:UNUSED_PAD src0_sel:DWORD src1_sel:WORD_0
	s_clause 0x5
	global_load_dwordx4 v[9:12], v13, s[8:9]
	global_load_dwordx4 v[13:16], v13, s[8:9] offset:16
	global_load_dwordx4 v[17:20], v26, s[8:9]
	global_load_dwordx4 v[26:29], v26, s[8:9] offset:16
	;; [unrolled: 2-line block ×3, first 2 shown]
	ds_read2_b64 v[38:41], v96 offset1:153
	ds_read2_b64 v[42:45], v98 offset0:100 offset1:253
	ds_read2_b64 v[46:49], v99 offset0:72 offset1:225
	;; [unrolled: 1-line block ×5, first 2 shown]
	v_mul_lo_u16 v21, 0xa1, v21
	v_mul_u32_u24_sdwa v65, v24, v63 dst_sel:DWORD dst_unused:UNUSED_PAD src0_sel:WORD_0 src1_sel:DWORD
	v_mul_u32_u24_sdwa v66, v25, v63 dst_sel:DWORD dst_unused:UNUSED_PAD src0_sel:WORD_0 src1_sel:DWORD
	;; [unrolled: 1-line block ×4, first 2 shown]
	v_lshrrev_b16 v116, 13, v21
	v_mul_u32_u24_e32 v121, 0x198, v62
	v_lshrrev_b32_e32 v117, 21, v65
	v_lshrrev_b32_e32 v119, 21, v63
	;; [unrolled: 1-line block ×3, first 2 shown]
	s_mov_b32 s4, 0xe8584caa
	s_mov_b32 s5, 0xbfebb67a
	;; [unrolled: 1-line block ×4, first 2 shown]
	v_mov_b32_e32 v115, 3
	v_mul_lo_u16 v122, v116, 51
	v_mul_lo_u16 v123, v117, 51
	;; [unrolled: 1-line block ×4, first 2 shown]
	v_mul_u32_u24_e32 v23, 0x198, v23
	v_sub_nc_u16 v122, v92, v122
	v_mul_u32_u24_e32 v110, 0x198, v110
	s_waitcnt vmcnt(0) lgkmcnt(0)
	s_barrier
	buffer_gl0_inv
	v_mul_f64 v[64:65], v[44:45], v[11:12]
	v_mul_f64 v[66:67], v[48:49], v[15:16]
	;; [unrolled: 1-line block ×16, first 2 shown]
	v_fma_f64 v[64:65], v[86:87], v[9:10], v[64:65]
	v_fma_f64 v[66:67], v[90:91], v[13:14], v[66:67]
	;; [unrolled: 1-line block ×4, first 2 shown]
	v_fma_f64 v[5:6], v[42:43], v[5:6], -v[7:8]
	v_fma_f64 v[1:2], v[46:47], v[1:2], -v[3:4]
	;; [unrolled: 1-line block ×4, first 2 shown]
	v_fma_f64 v[76:77], v[76:77], v[17:18], v[102:103]
	v_fma_f64 v[80:81], v[80:81], v[26:27], v[104:105]
	v_fma_f64 v[9:10], v[54:55], v[17:18], -v[19:20]
	v_fma_f64 v[11:12], v[58:59], v[26:27], -v[28:29]
	v_fma_f64 v[78:79], v[78:79], v[30:31], v[106:107]
	v_fma_f64 v[82:83], v[82:83], v[34:35], v[108:109]
	v_fma_f64 v[13:14], v[56:57], v[30:31], -v[32:33]
	v_fma_f64 v[15:16], v[60:61], v[34:35], -v[36:37]
	v_lshlrev_b32_sdwa v87, v115, v111 dst_sel:DWORD dst_unused:UNUSED_PAD src0_sel:DWORD src1_sel:BYTE_0
	v_sub_nc_u16 v84, v24, v123
	v_lshlrev_b32_sdwa v88, v115, v112 dst_sel:DWORD dst_unused:UNUSED_PAD src0_sel:DWORD src1_sel:WORD_0
	v_sub_nc_u16 v85, v25, v124
	v_lshlrev_b32_sdwa v89, v115, v113 dst_sel:DWORD dst_unused:UNUSED_PAD src0_sel:DWORD src1_sel:WORD_0
	v_lshlrev_b32_sdwa v90, v115, v114 dst_sel:DWORD dst_unused:UNUSED_PAD src0_sel:DWORD src1_sel:WORD_0
	v_add_f64 v[42:43], v[70:71], v[64:65]
	v_add_f64 v[19:20], v[64:65], v[66:67]
	v_add_f64 v[64:65], v[64:65], -v[66:67]
	v_add_f64 v[17:18], v[21:22], v[62:63]
	v_add_f64 v[30:31], v[68:69], v[21:22]
	;; [unrolled: 1-line block ×3, first 2 shown]
	v_add_f64 v[32:33], v[5:6], -v[1:2]
	v_add_f64 v[36:37], v[3:4], v[7:8]
	v_add_f64 v[5:6], v[38:39], v[5:6]
	;; [unrolled: 1-line block ×7, first 2 shown]
	v_add_f64 v[21:22], v[21:22], -v[62:63]
	v_add_f64 v[48:49], v[13:14], v[15:16]
	v_add_f64 v[56:57], v[3:4], -v[7:8]
	v_add_f64 v[3:4], v[40:41], v[3:4]
	;; [unrolled: 2-line block ×4, first 2 shown]
	v_lshlrev_b32_sdwa v91, v93, v122 dst_sel:DWORD dst_unused:UNUSED_PAD src0_sel:DWORD src1_sel:BYTE_0
	v_fma_f64 v[19:20], v[19:20], -0.5, v[70:71]
	v_add_f64 v[70:71], v[78:79], -v[82:83]
	v_fma_f64 v[17:18], v[17:18], -0.5, v[68:69]
	v_add_f64 v[68:69], v[76:77], -v[80:81]
	v_fma_f64 v[34:35], v[34:35], -0.5, v[38:39]
	v_add_f64 v[30:31], v[30:31], v[62:63]
	v_fma_f64 v[36:37], v[36:37], -0.5, v[40:41]
	v_add_f64 v[38:39], v[42:43], v[66:67]
	;; [unrolled: 2-line block ×5, first 2 shown]
	v_fma_f64 v[44:45], v[48:49], -0.5, v[52:53]
	v_add3_u32 v87, 0, v120, v87
	v_sub_nc_u16 v86, v0, v125
	v_lshlrev_b32_sdwa v102, v93, v84 dst_sel:DWORD dst_unused:UNUSED_PAD src0_sel:DWORD src1_sel:WORD_0
	v_add3_u32 v23, 0, v23, v88
	v_lshlrev_b32_sdwa v103, v93, v85 dst_sel:DWORD dst_unused:UNUSED_PAD src0_sel:DWORD src1_sel:WORD_0
	v_add3_u32 v72, 0, v121, v89
	v_add3_u32 v73, 0, v110, v90
	v_mul_u32_u24_e32 v81, 0x4c8, v118
	v_mul_u32_u24_e32 v82, 0x4c8, v119
	v_fma_f64 v[48:49], v[32:33], s[4:5], v[17:18]
	v_fma_f64 v[17:18], v[32:33], s[6:7], v[17:18]
	v_fma_f64 v[62:63], v[21:22], s[6:7], v[34:35]
	v_fma_f64 v[21:22], v[21:22], s[4:5], v[34:35]
	v_fma_f64 v[32:33], v[56:57], s[4:5], v[19:20]
	v_fma_f64 v[19:20], v[56:57], s[6:7], v[19:20]
	v_add_f64 v[56:57], v[3:4], v[7:8]
	v_fma_f64 v[34:35], v[64:65], s[6:7], v[36:37]
	v_fma_f64 v[36:37], v[64:65], s[4:5], v[36:37]
	v_fma_f64 v[50:51], v[58:59], s[4:5], v[26:27]
	v_fma_f64 v[26:27], v[58:59], s[6:7], v[26:27]
	v_add_f64 v[58:59], v[9:10], v[11:12]
	v_fma_f64 v[64:65], v[68:69], s[6:7], v[40:41]
	v_fma_f64 v[40:41], v[68:69], s[4:5], v[40:41]
	;; [unrolled: 1-line block ×4, first 2 shown]
	v_add_f64 v[60:61], v[13:14], v[15:16]
	v_fma_f64 v[66:67], v[70:71], s[6:7], v[44:45]
	v_fma_f64 v[44:45], v[70:71], s[4:5], v[44:45]
	v_mul_u32_u24_e32 v71, 0x4c8, v117
	v_lshlrev_b32_sdwa v83, v115, v85 dst_sel:DWORD dst_unused:UNUSED_PAD src0_sel:DWORD src1_sel:WORD_0
	ds_write2_b64 v87, v[30:31], v[48:49] offset1:17
	ds_write_b64 v87, v[17:18] offset:272
	ds_write2_b64 v23, v[38:39], v[32:33] offset1:17
	ds_write_b64 v23, v[19:20] offset:272
	;; [unrolled: 2-line block ×4, first 2 shown]
	s_waitcnt lgkmcnt(0)
	s_barrier
	buffer_gl0_inv
	ds_read2_b64 v[1:4], v96 offset1:153
	ds_read2_b64 v[5:8], v98 offset0:100 offset1:253
	ds_read2_b64 v[9:12], v99 offset0:72 offset1:225
	;; [unrolled: 1-line block ×5, first 2 shown]
	s_waitcnt lgkmcnt(0)
	s_barrier
	buffer_gl0_inv
	ds_write2_b64 v87, v[54:55], v[62:63] offset1:17
	ds_write_b64 v87, v[21:22] offset:272
	ds_write2_b64 v23, v[56:57], v[34:35] offset1:17
	ds_write_b64 v23, v[36:37] offset:272
	;; [unrolled: 2-line block ×4, first 2 shown]
	s_waitcnt lgkmcnt(0)
	s_barrier
	buffer_gl0_inv
	s_clause 0x1
	global_load_dwordx4 v[31:34], v91, s[8:9] offset:560
	global_load_dwordx4 v[35:38], v91, s[8:9] offset:544
	v_lshlrev_b32_sdwa v21, v93, v86 dst_sel:DWORD dst_unused:UNUSED_PAD src0_sel:DWORD src1_sel:WORD_0
	s_clause 0x5
	global_load_dwordx4 v[39:42], v102, s[8:9] offset:544
	global_load_dwordx4 v[43:46], v102, s[8:9] offset:560
	global_load_dwordx4 v[47:50], v103, s[8:9] offset:544
	global_load_dwordx4 v[51:54], v103, s[8:9] offset:560
	global_load_dwordx4 v[55:58], v21, s[8:9] offset:544
	global_load_dwordx4 v[59:62], v21, s[8:9] offset:560
	v_mov_b32_e32 v21, 0x358b
	v_add_nc_u32_e32 v63, 0x2fd, v92
	v_add_nc_u32_e32 v26, 0x264, v92
	v_mov_b32_e32 v93, 0
	v_mov_b32_e32 v23, 0x4c8
	v_mul_u32_u24_sdwa v64, v25, v21 dst_sel:DWORD dst_unused:UNUSED_PAD src0_sel:WORD_0 src1_sel:DWORD
	v_mul_u32_u24_sdwa v67, v63, v21 dst_sel:DWORD dst_unused:UNUSED_PAD src0_sel:WORD_0 src1_sel:DWORD
	;; [unrolled: 1-line block ×4, first 2 shown]
	v_lshlrev_b64 v[21:22], 4, v[92:93]
	v_lshrrev_b32_e32 v64, 21, v64
	v_lshrrev_b32_e32 v67, 21, v67
	v_lshrrev_b32_e32 v65, 21, v65
	v_lshrrev_b32_e32 v66, 21, v66
	v_mul_u32_u24_sdwa v23, v116, v23 dst_sel:DWORD dst_unused:UNUSED_PAD src0_sel:WORD_0 src1_sel:DWORD
	v_add_co_u32 v21, s0, s8, v21
	v_mul_lo_u16 v67, 0x99, v67
	v_add_co_ci_u32_e64 v22, s0, s9, v22, s0
	v_mul_lo_u16 v64, 0x99, v64
	v_mul_lo_u16 v65, 0x99, v65
	;; [unrolled: 1-line block ×3, first 2 shown]
	v_sub_nc_u16 v63, v63, v67
	v_lshlrev_b32_sdwa v72, v115, v122 dst_sel:DWORD dst_unused:UNUSED_PAD src0_sel:DWORD src1_sel:BYTE_0
	v_lshlrev_b32_sdwa v73, v115, v84 dst_sel:DWORD dst_unused:UNUSED_PAD src0_sel:DWORD src1_sel:WORD_0
	v_add_co_u32 v79, s0, 0x800, v21
	v_add_co_ci_u32_e64 v80, s0, 0, v22, s0
	v_sub_nc_u16 v21, v25, v64
	v_sub_nc_u16 v0, v0, v65
	;; [unrolled: 1-line block ×3, first 2 shown]
	v_and_b32_e32 v107, 0xffff, v63
	ds_read2_b64 v[63:66], v98 offset0:100 offset1:253
	ds_read2_b64 v[67:70], v99 offset0:72 offset1:225
	v_add3_u32 v108, 0, v23, v72
	v_add3_u32 v109, 0, v71, v73
	ds_read2_b64 v[71:74], v100 offset0:22 offset1:175
	ds_read2_b64 v[75:78], v101 offset0:58 offset1:211
	v_and_b32_e32 v91, 0xffff, v21
	v_and_b32_e32 v93, 0xffff, v0
	v_lshlrev_b32_sdwa v84, v115, v86 dst_sel:DWORD dst_unused:UNUSED_PAD src0_sel:DWORD src1_sel:WORD_0
	v_and_b32_e32 v106, 0xffff, v22
	v_add3_u32 v110, 0, v81, v83
	v_lshlrev_b32_e32 v0, 4, v91
	v_lshlrev_b32_e32 v21, 4, v93
	v_add3_u32 v111, 0, v82, v84
	v_lshlrev_b32_e32 v23, 4, v106
	v_lshlrev_b32_e32 v112, 4, v107
	v_add_co_u32 v0, s0, s8, v0
	v_add_co_ci_u32_e64 v113, null, s9, 0, s0
	v_add_co_u32 v114, s0, s8, v21
	v_add_co_ci_u32_e64 v115, null, s9, 0, s0
	;; [unrolled: 2-line block ×4, first 2 shown]
	s_waitcnt vmcnt(5) lgkmcnt(3)
	v_mul_f64 v[83:84], v[65:66], v[41:42]
	s_waitcnt vmcnt(4) lgkmcnt(2)
	v_mul_f64 v[85:86], v[69:70], v[45:46]
	v_mul_f64 v[81:82], v[67:68], v[33:34]
	;; [unrolled: 1-line block ×5, first 2 shown]
	s_waitcnt vmcnt(3) lgkmcnt(1)
	v_mul_f64 v[87:88], v[71:72], v[49:50]
	s_waitcnt vmcnt(2) lgkmcnt(0)
	v_mul_f64 v[89:90], v[75:76], v[53:54]
	s_waitcnt vmcnt(1)
	v_mul_f64 v[102:103], v[73:74], v[57:58]
	s_waitcnt vmcnt(0)
	v_mul_f64 v[104:105], v[77:78], v[61:62]
	v_mul_f64 v[41:42], v[7:8], v[41:42]
	;; [unrolled: 1-line block ×7, first 2 shown]
	v_fma_f64 v[83:84], v[7:8], v[39:40], v[83:84]
	v_fma_f64 v[85:86], v[11:12], v[43:44], v[85:86]
	;; [unrolled: 1-line block ×4, first 2 shown]
	v_fma_f64 v[35:36], v[63:64], v[35:36], -v[37:38]
	v_fma_f64 v[31:32], v[67:68], v[31:32], -v[33:34]
	v_fma_f64 v[17:18], v[17:18], v[47:48], v[87:88]
	v_fma_f64 v[27:28], v[27:28], v[51:52], v[89:90]
	;; [unrolled: 1-line block ×4, first 2 shown]
	v_fma_f64 v[33:34], v[65:66], v[39:40], -v[41:42]
	v_fma_f64 v[37:38], v[69:70], v[43:44], -v[45:46]
	v_fma_f64 v[39:40], v[71:72], v[47:48], -v[49:50]
	v_fma_f64 v[41:42], v[75:76], v[51:52], -v[53:54]
	v_fma_f64 v[43:44], v[73:74], v[55:56], -v[57:58]
	v_fma_f64 v[45:46], v[77:78], v[59:60], -v[61:62]
	ds_read2_b64 v[5:8], v96 offset1:153
	ds_read2_b64 v[9:12], v97 offset0:50 offset1:203
	v_add_co_u32 v87, s0, 0x800, v0
	v_add_co_ci_u32_e64 v88, s0, 0, v113, s0
	v_add_f64 v[67:68], v[3:4], v[83:84]
	v_add_f64 v[49:50], v[83:84], v[85:86]
	v_add_co_u32 v89, s0, 0x800, v114
	v_add_f64 v[47:48], v[21:22], v[81:82]
	v_add_f64 v[63:64], v[35:36], v[31:32]
	;; [unrolled: 1-line block ×4, first 2 shown]
	v_add_f64 v[61:62], v[35:36], -v[31:32]
	v_add_f64 v[55:56], v[19:20], v[29:30]
	v_add_f64 v[21:22], v[21:22], -v[81:82]
	v_add_f64 v[65:66], v[33:34], v[37:38]
	v_add_f64 v[71:72], v[13:14], v[17:18]
	;; [unrolled: 1-line block ×3, first 2 shown]
	s_waitcnt lgkmcnt(1)
	v_add_f64 v[35:36], v[5:6], v[35:36]
	v_add_f64 v[73:74], v[43:44], v[45:46]
	;; [unrolled: 1-line block ×3, first 2 shown]
	v_add_f64 v[17:18], v[17:18], -v[27:28]
	v_add_f64 v[19:20], v[19:20], -v[29:30]
	v_add_co_ci_u32_e64 v90, s0, 0, v115, s0
	v_add_co_u32 v51, s0, 0x800, v23
	v_add_co_ci_u32_e64 v52, s0, 0, v116, s0
	v_add_co_u32 v57, s0, 0x800, v112
	v_fma_f64 v[0:1], v[47:48], -0.5, v[1:2]
	v_fma_f64 v[2:3], v[49:50], -0.5, v[3:4]
	v_add_f64 v[49:50], v[39:40], -v[41:42]
	s_waitcnt lgkmcnt(0)
	v_add_f64 v[39:40], v[9:10], v[39:40]
	v_fma_f64 v[4:5], v[63:64], -0.5, v[5:6]
	v_add_f64 v[47:48], v[33:34], -v[37:38]
	v_fma_f64 v[13:14], v[53:54], -0.5, v[13:14]
	v_add_f64 v[53:54], v[43:44], -v[45:46]
	v_fma_f64 v[15:16], v[55:56], -0.5, v[15:16]
	v_add_f64 v[33:34], v[7:8], v[33:34]
	v_add_f64 v[55:56], v[83:84], -v[85:86]
	v_add_f64 v[43:44], v[11:12], v[43:44]
	v_fma_f64 v[6:7], v[65:66], -0.5, v[7:8]
	v_fma_f64 v[8:9], v[69:70], -0.5, v[9:10]
	;; [unrolled: 1-line block ×3, first 2 shown]
	v_add_f64 v[59:60], v[59:60], v[81:82]
	v_add_f64 v[31:32], v[35:36], v[31:32]
	;; [unrolled: 1-line block ×5, first 2 shown]
	v_add_co_ci_u32_e64 v58, s0, 0, v117, s0
	v_fma_f64 v[65:66], v[61:62], s[4:5], v[0:1]
	v_fma_f64 v[0:1], v[61:62], s[6:7], v[0:1]
	v_add_f64 v[35:36], v[39:40], v[41:42]
	v_fma_f64 v[39:40], v[21:22], s[6:7], v[4:5]
	v_fma_f64 v[41:42], v[21:22], s[4:5], v[4:5]
	;; [unrolled: 1-line block ×5, first 2 shown]
	v_add_f64 v[33:34], v[33:34], v[37:38]
	v_fma_f64 v[12:13], v[49:50], s[6:7], v[13:14]
	v_add_f64 v[37:38], v[43:44], v[45:46]
	v_fma_f64 v[43:44], v[55:56], s[6:7], v[6:7]
	v_fma_f64 v[45:46], v[55:56], s[4:5], v[6:7]
	;; [unrolled: 1-line block ×8, first 2 shown]
	s_barrier
	buffer_gl0_inv
	ds_write2_b64 v108, v[59:60], v[65:66] offset1:51
	ds_write_b64 v108, v[0:1] offset:816
	ds_write2_b64 v109, v[63:64], v[61:62] offset1:51
	ds_write_b64 v109, v[2:3] offset:816
	;; [unrolled: 2-line block ×4, first 2 shown]
	s_waitcnt lgkmcnt(0)
	s_barrier
	buffer_gl0_inv
	ds_read2_b64 v[0:3], v96 offset1:153
	ds_read2_b64 v[4:7], v100 offset0:22 offset1:175
	ds_read2_b64 v[8:11], v97 offset0:50 offset1:203
	;; [unrolled: 1-line block ×5, first 2 shown]
	s_waitcnt lgkmcnt(0)
	s_barrier
	buffer_gl0_inv
	ds_write2_b64 v108, v[31:32], v[39:40] offset1:51
	ds_write_b64 v108, v[41:42] offset:816
	ds_write2_b64 v109, v[33:34], v[43:44] offset1:51
	ds_write_b64 v109, v[45:46] offset:816
	;; [unrolled: 2-line block ×4, first 2 shown]
	s_waitcnt lgkmcnt(0)
	s_barrier
	buffer_gl0_inv
	s_clause 0x4
	global_load_dwordx4 v[27:30], v[79:80], off offset:128
	global_load_dwordx4 v[31:34], v[87:88], off offset:128
	;; [unrolled: 1-line block ×5, first 2 shown]
	ds_read2_b64 v[47:50], v100 offset0:22 offset1:175
	ds_read2_b64 v[51:54], v99 offset0:72 offset1:225
	;; [unrolled: 1-line block ×3, first 2 shown]
	s_waitcnt vmcnt(4) lgkmcnt(2)
	v_mul_f64 v[59:60], v[47:48], v[29:30]
	v_mul_f64 v[61:62], v[49:50], v[29:30]
	s_waitcnt vmcnt(3) lgkmcnt(1)
	v_mul_f64 v[63:64], v[51:52], v[33:34]
	s_waitcnt vmcnt(2)
	v_mul_f64 v[65:66], v[53:54], v[37:38]
	s_waitcnt vmcnt(1) lgkmcnt(0)
	v_mul_f64 v[67:68], v[55:56], v[41:42]
	s_waitcnt vmcnt(0)
	v_mul_f64 v[69:70], v[57:58], v[45:46]
	v_mul_f64 v[71:72], v[4:5], v[29:30]
	;; [unrolled: 1-line block ×7, first 2 shown]
	v_fma_f64 v[59:60], v[4:5], v[27:28], v[59:60]
	v_fma_f64 v[61:62], v[6:7], v[27:28], v[61:62]
	;; [unrolled: 1-line block ×6, first 2 shown]
	v_fma_f64 v[47:48], v[47:48], v[27:28], -v[71:72]
	v_fma_f64 v[27:28], v[49:50], v[27:28], -v[29:30]
	v_fma_f64 v[29:30], v[51:52], v[31:32], -v[33:34]
	v_fma_f64 v[31:32], v[53:54], v[35:36], -v[37:38]
	v_fma_f64 v[33:34], v[55:56], v[39:40], -v[41:42]
	v_fma_f64 v[35:36], v[57:58], v[43:44], -v[45:46]
	ds_read2_b64 v[4:7], v96 offset1:153
	ds_read2_b64 v[12:15], v97 offset0:50 offset1:203
	ds_read2_b64 v[20:23], v98 offset0:100 offset1:253
	v_lshl_add_u32 v51, v91, 3, 0
	v_lshl_add_u32 v52, v93, 3, 0
	;; [unrolled: 1-line block ×4, first 2 shown]
	s_waitcnt lgkmcnt(0)
	s_barrier
	buffer_gl0_inv
	v_add_f64 v[37:38], v[0:1], -v[59:60]
	v_add_f64 v[39:40], v[2:3], -v[61:62]
	v_add_f64 v[41:42], v[8:9], -v[63:64]
	v_add_f64 v[43:44], v[10:11], -v[65:66]
	v_add_f64 v[45:46], v[16:17], -v[67:68]
	v_add_f64 v[49:50], v[18:19], -v[69:70]
	v_add_nc_u32_e32 v63, 0x1000, v51
	v_add_nc_u32_e32 v64, 0x1c00, v52
	v_add_f64 v[47:48], v[4:5], -v[47:48]
	v_add_f64 v[27:28], v[6:7], -v[27:28]
	;; [unrolled: 1-line block ×6, first 2 shown]
	v_add_nc_u32_e32 v65, 0x2400, v53
	v_add_nc_u32_e32 v66, 0x2e00, v54
	v_fma_f64 v[0:1], v[0:1], 2.0, -v[37:38]
	v_fma_f64 v[2:3], v[2:3], 2.0, -v[39:40]
	;; [unrolled: 1-line block ×6, first 2 shown]
	ds_write2_b64 v96, v[0:1], v[37:38] offset1:153
	ds_write2_b64 v97, v[2:3], v[39:40] offset0:50 offset1:203
	ds_write2_b64 v63, v[8:9], v[41:42] offset0:100 offset1:253
	;; [unrolled: 1-line block ×5, first 2 shown]
	v_fma_f64 v[51:52], v[4:5], 2.0, -v[47:48]
	v_fma_f64 v[53:54], v[6:7], 2.0, -v[27:28]
	;; [unrolled: 1-line block ×6, first 2 shown]
	s_waitcnt lgkmcnt(0)
	s_barrier
	buffer_gl0_inv
	ds_read2_b64 v[0:3], v96 offset1:153
	ds_read2_b64 v[20:23], v97 offset0:50 offset1:203
	ds_read2_b64 v[4:7], v98 offset0:100 offset1:253
	;; [unrolled: 1-line block ×5, first 2 shown]
	s_waitcnt lgkmcnt(0)
	s_barrier
	buffer_gl0_inv
	ds_write2_b64 v96, v[51:52], v[47:48] offset1:153
	ds_write2_b64 v97, v[53:54], v[27:28] offset0:50 offset1:203
	ds_write2_b64 v63, v[55:56], v[29:30] offset0:100 offset1:253
	;; [unrolled: 1-line block ×5, first 2 shown]
	s_waitcnt lgkmcnt(0)
	s_barrier
	buffer_gl0_inv
	s_and_saveexec_b32 s0, vcc_lo
	s_cbranch_execz .LBB0_17
; %bb.16:
	v_mul_u32_u24_e32 v27, 5, v24
	v_mul_u32_u24_e32 v28, 5, v92
	v_mad_u64_u32 v[98:99], null, s2, v26, 0
	v_add_nc_u32_e32 v71, 0x1000, v96
	v_lshlrev_b32_e32 v27, 4, v27
	v_lshlrev_b32_e32 v28, 4, v28
	v_add_nc_u32_e32 v75, 0x2400, v96
	v_add_nc_u32_e32 v79, 0x1c00, v96
	;; [unrolled: 1-line block ×3, first 2 shown]
	v_add_co_u32 v27, s0, s8, v27
	v_add_co_ci_u32_e64 v29, null, s9, 0, s0
	v_add_co_u32 v28, s0, s8, v28
	v_add_co_u32 v55, vcc_lo, 0x1210, v27
	v_add_co_ci_u32_e32 v56, vcc_lo, 0, v29, vcc_lo
	v_add_co_ci_u32_e64 v30, null, s9, 0, s0
	v_add_co_u32 v43, vcc_lo, 0x1000, v27
	v_add_co_ci_u32_e32 v44, vcc_lo, 0, v29, vcc_lo
	v_add_co_u32 v63, vcc_lo, 0x1210, v28
	v_add_co_ci_u32_e32 v64, vcc_lo, 0, v30, vcc_lo
	;; [unrolled: 2-line block ×3, first 2 shown]
	s_clause 0x9
	global_load_dwordx4 v[27:30], v[55:56], off offset:32
	global_load_dwordx4 v[31:34], v[43:44], off offset:592
	;; [unrolled: 1-line block ×10, first 2 shown]
	ds_read2_b64 v[67:70], v96 offset1:153
	v_add_nc_u32_e32 v87, 0x800, v96
	v_mad_u64_u32 v[96:97], null, s2, v92, 0
	v_add_nc_u32_e32 v108, 0x396, v92
	v_add_nc_u32_e32 v109, 0x4c8, v92
	;; [unrolled: 1-line block ×3, first 2 shown]
	v_mul_hi_u32 v106, 0xd62b80d7, v24
	v_add_co_u32 v130, vcc_lo, s12, v94
	v_mad_u64_u32 v[93:94], null, s2, v25, 0
	v_mad_u64_u32 v[100:101], null, s2, v108, 0
	;; [unrolled: 1-line block ×3, first 2 shown]
	v_add_co_ci_u32_e32 v131, vcc_lo, s13, v95, vcc_lo
	v_mad_u64_u32 v[104:105], null, s2, v110, 0
	v_mov_b32_e32 v95, v99
	v_mov_b32_e32 v91, v97
	v_lshrrev_b32_e32 v97, 8, v106
	ds_read2_b64 v[71:74], v71 offset0:100 offset1:253
	ds_read2_b64 v[75:78], v75 offset0:72 offset1:225
	;; [unrolled: 1-line block ×5, first 2 shown]
	v_mad_u64_u32 v[106:107], null, s3, v25, v[94:95]
	v_mad_u64_u32 v[25:26], null, s3, v26, v[95:96]
	;; [unrolled: 1-line block ×3, first 2 shown]
	v_mov_b32_e32 v26, v101
	v_mov_b32_e32 v92, v103
	;; [unrolled: 1-line block ×3, first 2 shown]
	v_mad_u32_u24 v118, 0x5fa, v97, v24
	v_mov_b32_e32 v99, v25
	v_mov_b32_e32 v97, v91
	v_add_nc_u32_e32 v120, 0x264, v118
	v_add_nc_u32_e32 v119, 0x132, v118
	;; [unrolled: 1-line block ×5, first 2 shown]
	v_mad_u64_u32 v[24:25], null, s2, v119, 0
	v_mad_u64_u32 v[112:113], null, s2, v121, 0
	;; [unrolled: 1-line block ×4, first 2 shown]
	s_waitcnt vmcnt(9)
	v_mad_u64_u32 v[107:108], null, s3, v108, v[26:27]
	v_mad_u64_u32 v[108:109], null, s3, v109, v[92:93]
	;; [unrolled: 1-line block ×5, first 2 shown]
	v_mov_b32_e32 v94, v106
	v_mov_b32_e32 v101, v107
	;; [unrolled: 1-line block ×5, first 2 shown]
	v_lshlrev_b64 v[95:96], 4, v[96:97]
	v_lshlrev_b64 v[93:94], 4, v[93:94]
	;; [unrolled: 1-line block ×6, first 2 shown]
	v_mad_u64_u32 v[105:106], null, s3, v118, v[26:27]
	v_mov_b32_e32 v26, v92
	v_add_co_u32 v95, vcc_lo, v130, v95
	v_add_co_ci_u32_e32 v96, vcc_lo, v131, v96, vcc_lo
	v_mad_u64_u32 v[108:109], null, s3, v119, v[25:26]
	v_mov_b32_e32 v92, v113
	v_add_co_u32 v93, vcc_lo, v130, v93
	v_mov_b32_e32 v106, v115
	v_mov_b32_e32 v107, v117
	v_mad_u64_u32 v[117:118], null, s3, v120, v[26:27]
	v_mad_u64_u32 v[118:119], null, s3, v121, v[92:93]
	;; [unrolled: 1-line block ×4, first 2 shown]
	v_mul_f64 v[25:26], v[14:15], v[29:30]
	s_waitcnt vmcnt(8)
	v_mul_f64 v[120:121], v[18:19], v[33:34]
	s_waitcnt vmcnt(7)
	;; [unrolled: 2-line block ×3, first 2 shown]
	v_mul_f64 v[124:125], v[16:17], v[41:42]
	s_waitcnt lgkmcnt(2)
	v_mul_f64 v[29:30], v[81:82], v[29:30]
	s_waitcnt lgkmcnt(1)
	v_mul_f64 v[33:34], v[85:86], v[33:34]
	s_waitcnt vmcnt(5)
	v_mul_f64 v[126:127], v[22:23], v[45:46]
	v_mul_f64 v[37:38], v[79:80], v[37:38]
	;; [unrolled: 1-line block ×4, first 2 shown]
	s_waitcnt vmcnt(0)
	v_mul_f64 v[128:129], v[8:9], v[65:66]
	v_mul_f64 v[65:66], v[75:76], v[65:66]
	v_add_co_ci_u32_e32 v94, vcc_lo, v131, v94, vcc_lo
	v_add_co_u32 v97, vcc_lo, v130, v97
	v_mov_b32_e32 v111, v105
	v_add_co_ci_u32_e32 v98, vcc_lo, v131, v98, vcc_lo
	v_add_co_u32 v99, vcc_lo, v130, v99
	v_add_co_ci_u32_e32 v100, vcc_lo, v131, v100, vcc_lo
	v_fma_f64 v[81:82], v[81:82], v[27:28], -v[25:26]
	v_fma_f64 v[85:86], v[85:86], v[31:32], -v[120:121]
	v_mul_f64 v[120:121], v[20:21], v[49:50]
	v_fma_f64 v[79:80], v[79:80], v[35:36], -v[122:123]
	v_fma_f64 v[83:84], v[83:84], v[39:40], -v[124:125]
	v_mov_b32_e32 v25, v108
	v_mul_f64 v[107:108], v[6:7], v[53:54]
	v_mul_f64 v[122:123], v[10:11], v[57:58]
	;; [unrolled: 1-line block ×7, first 2 shown]
	v_fma_f64 v[14:15], v[14:15], v[27:28], v[29:30]
	v_fma_f64 v[18:19], v[18:19], v[31:32], v[33:34]
	s_waitcnt lgkmcnt(0)
	v_fma_f64 v[26:27], v[89:90], v[43:44], -v[126:127]
	v_fma_f64 v[12:13], v[12:13], v[35:36], v[37:38]
	v_fma_f64 v[16:17], v[16:17], v[39:40], v[41:42]
	;; [unrolled: 1-line block ×3, first 2 shown]
	v_fma_f64 v[42:43], v[75:76], v[63:64], -v[128:129]
	v_fma_f64 v[8:9], v[8:9], v[63:64], v[65:66]
	v_add_co_u32 v101, vcc_lo, v130, v101
	v_add_f64 v[28:29], v[81:82], v[85:86]
	v_fma_f64 v[30:31], v[87:88], v[47:48], -v[120:121]
	v_lshlrev_b64 v[109:110], 4, v[110:111]
	v_add_f64 v[32:33], v[79:80], v[83:84]
	v_add_co_ci_u32_e32 v102, vcc_lo, v131, v102, vcc_lo
	v_fma_f64 v[36:37], v[73:74], v[51:52], -v[107:108]
	v_fma_f64 v[38:39], v[77:78], v[55:56], -v[122:123]
	v_fma_f64 v[6:7], v[6:7], v[51:52], v[53:54]
	v_fma_f64 v[10:11], v[10:11], v[55:56], v[57:58]
	v_fma_f64 v[40:41], v[71:72], v[59:60], -v[124:125]
	v_fma_f64 v[4:5], v[4:5], v[59:60], v[61:62]
	v_fma_f64 v[20:21], v[87:88], v[49:50], v[20:21]
	v_add_f64 v[44:45], v[14:15], v[18:19]
	v_add_f64 v[46:47], v[14:15], -v[18:19]
	v_add_co_u32 v103, vcc_lo, v130, v103
	v_add_f64 v[48:49], v[12:13], v[16:17]
	v_add_f64 v[52:53], v[12:13], -v[16:17]
	v_lshlrev_b64 v[24:25], 4, v[24:25]
	v_add_co_ci_u32_e32 v104, vcc_lo, v131, v104, vcc_lo
	v_fma_f64 v[28:29], v[28:29], -0.5, v[26:27]
	v_add_co_u32 v54, vcc_lo, v130, v109
	v_fma_f64 v[32:33], v[32:33], -0.5, v[30:31]
	v_add_co_ci_u32_e32 v55, vcc_lo, v131, v110, vcc_lo
	v_add_co_u32 v56, vcc_lo, v130, v24
	v_add_co_ci_u32_e32 v57, vcc_lo, v131, v25, vcc_lo
	v_add_f64 v[24:25], v[36:37], v[38:39]
	v_add_f64 v[60:61], v[81:82], -v[85:86]
	v_add_f64 v[62:63], v[69:70], v[36:37]
	v_add_f64 v[64:65], v[6:7], v[10:11]
	;; [unrolled: 1-line block ×4, first 2 shown]
	v_fma_f64 v[44:45], v[44:45], -0.5, v[22:23]
	v_add_f64 v[75:76], v[79:80], -v[83:84]
	v_fma_f64 v[48:49], v[48:49], -0.5, v[20:21]
	v_add_f64 v[58:59], v[6:7], -v[10:11]
	v_add_f64 v[6:7], v[2:3], v[6:7]
	v_add_f64 v[14:15], v[14:15], v[22:23]
	v_fma_f64 v[77:78], v[46:47], s[4:5], v[28:29]
	v_fma_f64 v[28:29], v[46:47], s[6:7], v[28:29]
	v_add_f64 v[22:23], v[4:5], -v[8:9]
	v_fma_f64 v[46:47], v[52:53], s[4:5], v[32:33]
	v_fma_f64 v[32:33], v[52:53], s[6:7], v[32:33]
	v_add_f64 v[52:53], v[67:68], v[40:41]
	v_add_f64 v[30:31], v[79:80], v[30:31]
	;; [unrolled: 1-line block ×5, first 2 shown]
	v_add_f64 v[36:37], v[36:37], -v[38:39]
	v_add_f64 v[40:41], v[40:41], -v[42:43]
	v_fma_f64 v[20:21], v[24:25], -0.5, v[69:70]
	v_add_f64 v[24:25], v[62:63], v[38:39]
	v_fma_f64 v[2:3], v[64:65], -0.5, v[2:3]
	v_fma_f64 v[38:39], v[71:72], -0.5, v[67:68]
	;; [unrolled: 1-line block ×3, first 2 shown]
	v_fma_f64 v[62:63], v[60:61], s[6:7], v[44:45]
	v_fma_f64 v[44:45], v[60:61], s[4:5], v[44:45]
	;; [unrolled: 1-line block ×4, first 2 shown]
	v_add_f64 v[10:11], v[6:7], v[10:11]
	v_mul_f64 v[64:65], v[77:78], -0.5
	v_mul_f64 v[68:69], v[77:78], s[4:5]
	v_mul_f64 v[66:67], v[28:29], 0.5
	v_mul_f64 v[70:71], v[46:47], -0.5
	v_mul_f64 v[72:73], v[32:33], 0.5
	v_mul_f64 v[32:33], v[32:33], s[4:5]
	v_mul_f64 v[46:47], v[46:47], s[4:5]
	;; [unrolled: 1-line block ×3, first 2 shown]
	v_add_f64 v[14:15], v[18:19], v[14:15]
	v_add_f64 v[18:19], v[52:53], v[42:43]
	;; [unrolled: 1-line block ×6, first 2 shown]
	v_fma_f64 v[42:43], v[58:59], s[4:5], v[20:21]
	v_fma_f64 v[20:21], v[58:59], s[6:7], v[20:21]
	v_fma_f64 v[58:59], v[22:23], s[4:5], v[38:39]
	v_fma_f64 v[74:75], v[22:23], s[6:7], v[38:39]
	v_fma_f64 v[76:77], v[40:41], s[6:7], v[0:1]
	v_fma_f64 v[40:41], v[40:41], s[4:5], v[0:1]
	v_fma_f64 v[52:53], v[36:37], s[6:7], v[2:3]
	v_mov_b32_e32 v92, v117
	v_fma_f64 v[38:39], v[62:63], s[6:7], v[64:65]
	v_fma_f64 v[62:63], v[62:63], -0.5, v[68:69]
	v_fma_f64 v[64:65], v[44:45], s[6:7], v[66:67]
	v_fma_f64 v[66:67], v[60:61], s[6:7], v[70:71]
	;; [unrolled: 1-line block ×3, first 2 shown]
	v_fma_f64 v[48:49], v[48:49], 0.5, v[32:33]
	v_fma_f64 v[46:47], v[60:61], -0.5, v[46:47]
	v_fma_f64 v[70:71], v[36:37], s[4:5], v[2:3]
	v_fma_f64 v[72:73], v[44:45], 0.5, v[6:7]
	v_lshlrev_b64 v[34:35], 4, v[91:92]
	v_add_f64 v[0:1], v[10:11], -v[14:15]
	v_add_f64 v[4:5], v[10:11], v[14:15]
	v_add_f64 v[8:9], v[28:29], -v[12:13]
	v_add_f64 v[14:15], v[18:19], v[30:31]
	v_add_f64 v[12:13], v[28:29], v[12:13]
	v_add_co_u32 v60, vcc_lo, v130, v34
	v_add_f64 v[2:3], v[24:25], -v[26:27]
	v_add_f64 v[6:7], v[24:25], v[26:27]
	v_add_f64 v[10:11], v[18:19], -v[30:31]
	v_add_co_ci_u32_e32 v61, vcc_lo, v131, v35, vcc_lo
	v_add_f64 v[18:19], v[42:43], -v[38:39]
	v_add_f64 v[26:27], v[42:43], v[38:39]
	v_mov_b32_e32 v113, v118
	v_add_f64 v[34:35], v[58:59], v[66:67]
	v_add_f64 v[38:39], v[74:75], v[68:69]
	;; [unrolled: 1-line block ×4, first 2 shown]
	v_add_f64 v[42:43], v[74:75], -v[68:69]
	v_add_f64 v[40:41], v[40:41], -v[48:49]
	;; [unrolled: 1-line block ×4, first 2 shown]
	v_mov_b32_e32 v115, v119
	v_add_f64 v[46:47], v[20:21], v[64:65]
	v_add_f64 v[44:45], v[70:71], v[72:73]
	v_lshlrev_b64 v[91:92], 4, v[112:113]
	v_add_f64 v[24:25], v[52:53], v[62:63]
	v_mov_b32_e32 v117, v106
	v_add_f64 v[22:23], v[20:21], -v[64:65]
	v_add_f64 v[20:21], v[70:71], -v[72:73]
	v_lshlrev_b64 v[105:106], 4, v[114:115]
	v_add_f64 v[16:17], v[52:53], -v[62:63]
	v_lshlrev_b64 v[50:51], 4, v[116:117]
	v_add_co_u32 v48, vcc_lo, v130, v91
	v_add_co_ci_u32_e32 v49, vcc_lo, v131, v92, vcc_lo
	v_add_co_u32 v52, vcc_lo, v130, v105
	v_add_co_ci_u32_e32 v53, vcc_lo, v131, v106, vcc_lo
	;; [unrolled: 2-line block ×3, first 2 shown]
	global_store_dwordx4 v[95:96], v[12:15], off
	global_store_dwordx4 v[93:94], v[36:39], off
	;; [unrolled: 1-line block ×12, first 2 shown]
.LBB0_17:
	s_endpgm
	.section	.rodata,"a",@progbits
	.p2align	6, 0x0
	.amdhsa_kernel fft_rtc_back_len1836_factors_17_3_3_2_6_wgs_153_tpt_153_halfLds_dp_ip_CI_sbrr_dirReg
		.amdhsa_group_segment_fixed_size 0
		.amdhsa_private_segment_fixed_size 0
		.amdhsa_kernarg_size 88
		.amdhsa_user_sgpr_count 6
		.amdhsa_user_sgpr_private_segment_buffer 1
		.amdhsa_user_sgpr_dispatch_ptr 0
		.amdhsa_user_sgpr_queue_ptr 0
		.amdhsa_user_sgpr_kernarg_segment_ptr 1
		.amdhsa_user_sgpr_dispatch_id 0
		.amdhsa_user_sgpr_flat_scratch_init 0
		.amdhsa_user_sgpr_private_segment_size 0
		.amdhsa_wavefront_size32 1
		.amdhsa_uses_dynamic_stack 0
		.amdhsa_system_sgpr_private_segment_wavefront_offset 0
		.amdhsa_system_sgpr_workgroup_id_x 1
		.amdhsa_system_sgpr_workgroup_id_y 0
		.amdhsa_system_sgpr_workgroup_id_z 0
		.amdhsa_system_sgpr_workgroup_info 0
		.amdhsa_system_vgpr_workitem_id 0
		.amdhsa_next_free_vgpr 244
		.amdhsa_next_free_sgpr 58
		.amdhsa_reserve_vcc 1
		.amdhsa_reserve_flat_scratch 0
		.amdhsa_float_round_mode_32 0
		.amdhsa_float_round_mode_16_64 0
		.amdhsa_float_denorm_mode_32 3
		.amdhsa_float_denorm_mode_16_64 3
		.amdhsa_dx10_clamp 1
		.amdhsa_ieee_mode 1
		.amdhsa_fp16_overflow 0
		.amdhsa_workgroup_processor_mode 1
		.amdhsa_memory_ordered 1
		.amdhsa_forward_progress 0
		.amdhsa_shared_vgpr_count 0
		.amdhsa_exception_fp_ieee_invalid_op 0
		.amdhsa_exception_fp_denorm_src 0
		.amdhsa_exception_fp_ieee_div_zero 0
		.amdhsa_exception_fp_ieee_overflow 0
		.amdhsa_exception_fp_ieee_underflow 0
		.amdhsa_exception_fp_ieee_inexact 0
		.amdhsa_exception_int_div_zero 0
	.end_amdhsa_kernel
	.text
.Lfunc_end0:
	.size	fft_rtc_back_len1836_factors_17_3_3_2_6_wgs_153_tpt_153_halfLds_dp_ip_CI_sbrr_dirReg, .Lfunc_end0-fft_rtc_back_len1836_factors_17_3_3_2_6_wgs_153_tpt_153_halfLds_dp_ip_CI_sbrr_dirReg
                                        ; -- End function
	.section	.AMDGPU.csdata,"",@progbits
; Kernel info:
; codeLenInByte = 15004
; NumSgprs: 60
; NumVgprs: 244
; ScratchSize: 0
; MemoryBound: 1
; FloatMode: 240
; IeeeMode: 1
; LDSByteSize: 0 bytes/workgroup (compile time only)
; SGPRBlocks: 7
; VGPRBlocks: 30
; NumSGPRsForWavesPerEU: 60
; NumVGPRsForWavesPerEU: 244
; Occupancy: 4
; WaveLimiterHint : 1
; COMPUTE_PGM_RSRC2:SCRATCH_EN: 0
; COMPUTE_PGM_RSRC2:USER_SGPR: 6
; COMPUTE_PGM_RSRC2:TRAP_HANDLER: 0
; COMPUTE_PGM_RSRC2:TGID_X_EN: 1
; COMPUTE_PGM_RSRC2:TGID_Y_EN: 0
; COMPUTE_PGM_RSRC2:TGID_Z_EN: 0
; COMPUTE_PGM_RSRC2:TIDIG_COMP_CNT: 0
	.text
	.p2alignl 6, 3214868480
	.fill 48, 4, 3214868480
	.type	__hip_cuid_8b65ed7d53aac686,@object ; @__hip_cuid_8b65ed7d53aac686
	.section	.bss,"aw",@nobits
	.globl	__hip_cuid_8b65ed7d53aac686
__hip_cuid_8b65ed7d53aac686:
	.byte	0                               ; 0x0
	.size	__hip_cuid_8b65ed7d53aac686, 1

	.ident	"AMD clang version 19.0.0git (https://github.com/RadeonOpenCompute/llvm-project roc-6.4.0 25133 c7fe45cf4b819c5991fe208aaa96edf142730f1d)"
	.section	".note.GNU-stack","",@progbits
	.addrsig
	.addrsig_sym __hip_cuid_8b65ed7d53aac686
	.amdgpu_metadata
---
amdhsa.kernels:
  - .args:
      - .actual_access:  read_only
        .address_space:  global
        .offset:         0
        .size:           8
        .value_kind:     global_buffer
      - .offset:         8
        .size:           8
        .value_kind:     by_value
      - .actual_access:  read_only
        .address_space:  global
        .offset:         16
        .size:           8
        .value_kind:     global_buffer
      - .actual_access:  read_only
        .address_space:  global
        .offset:         24
        .size:           8
        .value_kind:     global_buffer
      - .offset:         32
        .size:           8
        .value_kind:     by_value
      - .actual_access:  read_only
        .address_space:  global
        .offset:         40
        .size:           8
        .value_kind:     global_buffer
      - .actual_access:  read_only
        .address_space:  global
        .offset:         48
        .size:           8
        .value_kind:     global_buffer
      - .offset:         56
        .size:           4
        .value_kind:     by_value
      - .actual_access:  read_only
        .address_space:  global
        .offset:         64
        .size:           8
        .value_kind:     global_buffer
      - .actual_access:  read_only
        .address_space:  global
        .offset:         72
        .size:           8
        .value_kind:     global_buffer
      - .address_space:  global
        .offset:         80
        .size:           8
        .value_kind:     global_buffer
    .group_segment_fixed_size: 0
    .kernarg_segment_align: 8
    .kernarg_segment_size: 88
    .language:       OpenCL C
    .language_version:
      - 2
      - 0
    .max_flat_workgroup_size: 153
    .name:           fft_rtc_back_len1836_factors_17_3_3_2_6_wgs_153_tpt_153_halfLds_dp_ip_CI_sbrr_dirReg
    .private_segment_fixed_size: 0
    .sgpr_count:     60
    .sgpr_spill_count: 0
    .symbol:         fft_rtc_back_len1836_factors_17_3_3_2_6_wgs_153_tpt_153_halfLds_dp_ip_CI_sbrr_dirReg.kd
    .uniform_work_group_size: 1
    .uses_dynamic_stack: false
    .vgpr_count:     244
    .vgpr_spill_count: 0
    .wavefront_size: 32
    .workgroup_processor_mode: 1
amdhsa.target:   amdgcn-amd-amdhsa--gfx1030
amdhsa.version:
  - 1
  - 2
...

	.end_amdgpu_metadata
